;; amdgpu-corpus repo=ROCm/rocFFT kind=compiled arch=gfx906 opt=O3
	.text
	.amdgcn_target "amdgcn-amd-amdhsa--gfx906"
	.amdhsa_code_object_version 6
	.protected	fft_rtc_back_len1512_factors_2_2_2_3_3_3_7_wgs_63_tpt_63_halfLds_dp_ip_CI_sbrr_dirReg ; -- Begin function fft_rtc_back_len1512_factors_2_2_2_3_3_3_7_wgs_63_tpt_63_halfLds_dp_ip_CI_sbrr_dirReg
	.globl	fft_rtc_back_len1512_factors_2_2_2_3_3_3_7_wgs_63_tpt_63_halfLds_dp_ip_CI_sbrr_dirReg
	.p2align	8
	.type	fft_rtc_back_len1512_factors_2_2_2_3_3_3_7_wgs_63_tpt_63_halfLds_dp_ip_CI_sbrr_dirReg,@function
fft_rtc_back_len1512_factors_2_2_2_3_3_3_7_wgs_63_tpt_63_halfLds_dp_ip_CI_sbrr_dirReg: ; @fft_rtc_back_len1512_factors_2_2_2_3_3_3_7_wgs_63_tpt_63_halfLds_dp_ip_CI_sbrr_dirReg
; %bb.0:
	s_load_dwordx2 s[14:15], s[4:5], 0x18
	s_load_dwordx4 s[8:11], s[4:5], 0x0
	s_load_dwordx2 s[12:13], s[4:5], 0x50
	v_mul_u32_u24_e32 v1, 0x411, v0
	v_add_u32_sdwa v5, s6, v1 dst_sel:DWORD dst_unused:UNUSED_PAD src0_sel:DWORD src1_sel:WORD_1
	s_waitcnt lgkmcnt(0)
	s_load_dwordx2 s[2:3], s[14:15], 0x0
	v_cmp_lt_u64_e64 s[0:1], s[10:11], 2
	v_mov_b32_e32 v3, 0
	v_mov_b32_e32 v1, 0
	;; [unrolled: 1-line block ×3, first 2 shown]
	s_and_b64 vcc, exec, s[0:1]
	v_mov_b32_e32 v2, 0
	s_cbranch_vccnz .LBB0_8
; %bb.1:
	s_load_dwordx2 s[0:1], s[4:5], 0x10
	s_add_u32 s6, s14, 8
	s_addc_u32 s7, s15, 0
	v_mov_b32_e32 v1, 0
	v_mov_b32_e32 v2, 0
	s_waitcnt lgkmcnt(0)
	s_add_u32 s16, s0, 8
	s_addc_u32 s17, s1, 0
	s_mov_b64 s[18:19], 1
.LBB0_2:                                ; =>This Inner Loop Header: Depth=1
	s_load_dwordx2 s[20:21], s[16:17], 0x0
                                        ; implicit-def: $vgpr7_vgpr8
	s_waitcnt lgkmcnt(0)
	v_or_b32_e32 v4, s21, v6
	v_cmp_ne_u64_e32 vcc, 0, v[3:4]
	s_and_saveexec_b64 s[0:1], vcc
	s_xor_b64 s[22:23], exec, s[0:1]
	s_cbranch_execz .LBB0_4
; %bb.3:                                ;   in Loop: Header=BB0_2 Depth=1
	v_cvt_f32_u32_e32 v4, s20
	v_cvt_f32_u32_e32 v7, s21
	s_sub_u32 s0, 0, s20
	s_subb_u32 s1, 0, s21
	v_mac_f32_e32 v4, 0x4f800000, v7
	v_rcp_f32_e32 v4, v4
	v_mul_f32_e32 v4, 0x5f7ffffc, v4
	v_mul_f32_e32 v7, 0x2f800000, v4
	v_trunc_f32_e32 v7, v7
	v_mac_f32_e32 v4, 0xcf800000, v7
	v_cvt_u32_f32_e32 v7, v7
	v_cvt_u32_f32_e32 v4, v4
	v_mul_lo_u32 v8, s0, v7
	v_mul_hi_u32 v9, s0, v4
	v_mul_lo_u32 v11, s1, v4
	v_mul_lo_u32 v10, s0, v4
	v_add_u32_e32 v8, v9, v8
	v_add_u32_e32 v8, v8, v11
	v_mul_hi_u32 v9, v4, v10
	v_mul_lo_u32 v11, v4, v8
	v_mul_hi_u32 v13, v4, v8
	v_mul_hi_u32 v12, v7, v10
	v_mul_lo_u32 v10, v7, v10
	v_mul_hi_u32 v14, v7, v8
	v_add_co_u32_e32 v9, vcc, v9, v11
	v_addc_co_u32_e32 v11, vcc, 0, v13, vcc
	v_mul_lo_u32 v8, v7, v8
	v_add_co_u32_e32 v9, vcc, v9, v10
	v_addc_co_u32_e32 v9, vcc, v11, v12, vcc
	v_addc_co_u32_e32 v10, vcc, 0, v14, vcc
	v_add_co_u32_e32 v8, vcc, v9, v8
	v_addc_co_u32_e32 v9, vcc, 0, v10, vcc
	v_add_co_u32_e32 v4, vcc, v4, v8
	v_addc_co_u32_e32 v7, vcc, v7, v9, vcc
	v_mul_lo_u32 v8, s0, v7
	v_mul_hi_u32 v9, s0, v4
	v_mul_lo_u32 v10, s1, v4
	v_mul_lo_u32 v11, s0, v4
	v_add_u32_e32 v8, v9, v8
	v_add_u32_e32 v8, v8, v10
	v_mul_lo_u32 v12, v4, v8
	v_mul_hi_u32 v13, v4, v11
	v_mul_hi_u32 v14, v4, v8
	;; [unrolled: 1-line block ×3, first 2 shown]
	v_mul_lo_u32 v11, v7, v11
	v_mul_hi_u32 v9, v7, v8
	v_add_co_u32_e32 v12, vcc, v13, v12
	v_addc_co_u32_e32 v13, vcc, 0, v14, vcc
	v_mul_lo_u32 v8, v7, v8
	v_add_co_u32_e32 v11, vcc, v12, v11
	v_addc_co_u32_e32 v10, vcc, v13, v10, vcc
	v_addc_co_u32_e32 v9, vcc, 0, v9, vcc
	v_add_co_u32_e32 v8, vcc, v10, v8
	v_addc_co_u32_e32 v9, vcc, 0, v9, vcc
	v_add_co_u32_e32 v4, vcc, v4, v8
	v_addc_co_u32_e32 v9, vcc, v7, v9, vcc
	v_mad_u64_u32 v[7:8], s[0:1], v5, v9, 0
	v_mul_hi_u32 v10, v5, v4
	v_add_co_u32_e32 v11, vcc, v10, v7
	v_addc_co_u32_e32 v12, vcc, 0, v8, vcc
	v_mad_u64_u32 v[7:8], s[0:1], v6, v4, 0
	v_mad_u64_u32 v[9:10], s[0:1], v6, v9, 0
	v_add_co_u32_e32 v4, vcc, v11, v7
	v_addc_co_u32_e32 v4, vcc, v12, v8, vcc
	v_addc_co_u32_e32 v7, vcc, 0, v10, vcc
	v_add_co_u32_e32 v4, vcc, v4, v9
	v_addc_co_u32_e32 v9, vcc, 0, v7, vcc
	v_mul_lo_u32 v10, s21, v4
	v_mul_lo_u32 v11, s20, v9
	v_mad_u64_u32 v[7:8], s[0:1], s20, v4, 0
	v_add3_u32 v8, v8, v11, v10
	v_sub_u32_e32 v10, v6, v8
	v_mov_b32_e32 v11, s21
	v_sub_co_u32_e32 v7, vcc, v5, v7
	v_subb_co_u32_e64 v10, s[0:1], v10, v11, vcc
	v_subrev_co_u32_e64 v11, s[0:1], s20, v7
	v_subbrev_co_u32_e64 v10, s[0:1], 0, v10, s[0:1]
	v_cmp_le_u32_e64 s[0:1], s21, v10
	v_cndmask_b32_e64 v12, 0, -1, s[0:1]
	v_cmp_le_u32_e64 s[0:1], s20, v11
	v_cndmask_b32_e64 v11, 0, -1, s[0:1]
	v_cmp_eq_u32_e64 s[0:1], s21, v10
	v_cndmask_b32_e64 v10, v12, v11, s[0:1]
	v_add_co_u32_e64 v11, s[0:1], 2, v4
	v_addc_co_u32_e64 v12, s[0:1], 0, v9, s[0:1]
	v_add_co_u32_e64 v13, s[0:1], 1, v4
	v_addc_co_u32_e64 v14, s[0:1], 0, v9, s[0:1]
	v_subb_co_u32_e32 v8, vcc, v6, v8, vcc
	v_cmp_ne_u32_e64 s[0:1], 0, v10
	v_cmp_le_u32_e32 vcc, s21, v8
	v_cndmask_b32_e64 v10, v14, v12, s[0:1]
	v_cndmask_b32_e64 v12, 0, -1, vcc
	v_cmp_le_u32_e32 vcc, s20, v7
	v_cndmask_b32_e64 v7, 0, -1, vcc
	v_cmp_eq_u32_e32 vcc, s21, v8
	v_cndmask_b32_e32 v7, v12, v7, vcc
	v_cmp_ne_u32_e32 vcc, 0, v7
	v_cndmask_b32_e64 v7, v13, v11, s[0:1]
	v_cndmask_b32_e32 v8, v9, v10, vcc
	v_cndmask_b32_e32 v7, v4, v7, vcc
.LBB0_4:                                ;   in Loop: Header=BB0_2 Depth=1
	s_andn2_saveexec_b64 s[0:1], s[22:23]
	s_cbranch_execz .LBB0_6
; %bb.5:                                ;   in Loop: Header=BB0_2 Depth=1
	v_cvt_f32_u32_e32 v4, s20
	s_sub_i32 s22, 0, s20
	v_rcp_iflag_f32_e32 v4, v4
	v_mul_f32_e32 v4, 0x4f7ffffe, v4
	v_cvt_u32_f32_e32 v4, v4
	v_mul_lo_u32 v7, s22, v4
	v_mul_hi_u32 v7, v4, v7
	v_add_u32_e32 v4, v4, v7
	v_mul_hi_u32 v4, v5, v4
	v_mul_lo_u32 v7, v4, s20
	v_add_u32_e32 v8, 1, v4
	v_sub_u32_e32 v7, v5, v7
	v_subrev_u32_e32 v9, s20, v7
	v_cmp_le_u32_e32 vcc, s20, v7
	v_cndmask_b32_e32 v7, v7, v9, vcc
	v_cndmask_b32_e32 v4, v4, v8, vcc
	v_add_u32_e32 v8, 1, v4
	v_cmp_le_u32_e32 vcc, s20, v7
	v_cndmask_b32_e32 v7, v4, v8, vcc
	v_mov_b32_e32 v8, v3
.LBB0_6:                                ;   in Loop: Header=BB0_2 Depth=1
	s_or_b64 exec, exec, s[0:1]
	v_mul_lo_u32 v4, v8, s20
	v_mul_lo_u32 v11, v7, s21
	v_mad_u64_u32 v[9:10], s[0:1], v7, s20, 0
	s_load_dwordx2 s[0:1], s[6:7], 0x0
	s_add_u32 s18, s18, 1
	v_add3_u32 v4, v10, v11, v4
	v_sub_co_u32_e32 v5, vcc, v5, v9
	v_subb_co_u32_e32 v4, vcc, v6, v4, vcc
	s_waitcnt lgkmcnt(0)
	v_mul_lo_u32 v4, s0, v4
	v_mul_lo_u32 v6, s1, v5
	v_mad_u64_u32 v[1:2], s[0:1], s0, v5, v[1:2]
	s_addc_u32 s19, s19, 0
	s_add_u32 s6, s6, 8
	v_add3_u32 v2, v6, v2, v4
	v_mov_b32_e32 v4, s10
	v_mov_b32_e32 v5, s11
	s_addc_u32 s7, s7, 0
	v_cmp_ge_u64_e32 vcc, s[18:19], v[4:5]
	s_add_u32 s16, s16, 8
	s_addc_u32 s17, s17, 0
	s_cbranch_vccnz .LBB0_9
; %bb.7:                                ;   in Loop: Header=BB0_2 Depth=1
	v_mov_b32_e32 v5, v7
	v_mov_b32_e32 v6, v8
	s_branch .LBB0_2
.LBB0_8:
	v_mov_b32_e32 v8, v6
	v_mov_b32_e32 v7, v5
.LBB0_9:
	s_lshl_b64 s[0:1], s[10:11], 3
	s_add_u32 s0, s14, s0
	s_addc_u32 s1, s15, s1
	s_load_dwordx2 s[6:7], s[0:1], 0x0
	s_load_dwordx2 s[10:11], s[4:5], 0x20
                                        ; implicit-def: $vgpr142
                                        ; implicit-def: $vgpr141
                                        ; implicit-def: $vgpr139
                                        ; implicit-def: $vgpr99
                                        ; implicit-def: $vgpr96
                                        ; implicit-def: $vgpr97
                                        ; implicit-def: $vgpr98
                                        ; implicit-def: $vgpr103
                                        ; implicit-def: $vgpr100
                                        ; implicit-def: $vgpr101
                                        ; implicit-def: $vgpr102
	s_waitcnt lgkmcnt(0)
	v_mad_u64_u32 v[1:2], s[0:1], s6, v7, v[1:2]
	s_mov_b32 s0, 0x4104105
	v_mul_lo_u32 v3, s6, v8
	v_mul_lo_u32 v4, s7, v7
	v_mul_hi_u32 v5, v0, s0
	v_cmp_gt_u64_e32 vcc, s[10:11], v[7:8]
	v_cmp_le_u64_e64 s[0:1], s[10:11], v[7:8]
	v_add3_u32 v2, v4, v2, v3
	v_mul_u32_u24_e32 v3, 63, v5
	v_sub_u32_e32 v138, v0, v3
	v_add_u32_e32 v140, 63, v138
	s_and_saveexec_b64 s[4:5], s[0:1]
	s_xor_b64 s[0:1], exec, s[4:5]
; %bb.10:
	v_add_u32_e32 v142, 63, v138
	v_add_u32_e32 v141, 0x7e, v138
	;; [unrolled: 1-line block ×11, first 2 shown]
; %bb.11:
	s_or_saveexec_b64 s[4:5], s[0:1]
	v_lshlrev_b64 v[106:107], 4, v[1:2]
                                        ; implicit-def: $vgpr38_vgpr39
                                        ; implicit-def: $vgpr14_vgpr15
                                        ; implicit-def: $vgpr42_vgpr43
                                        ; implicit-def: $vgpr18_vgpr19
                                        ; implicit-def: $vgpr46_vgpr47
                                        ; implicit-def: $vgpr22_vgpr23
                                        ; implicit-def: $vgpr50_vgpr51
                                        ; implicit-def: $vgpr30_vgpr31
                                        ; implicit-def: $vgpr54_vgpr55
                                        ; implicit-def: $vgpr2_vgpr3
                                        ; implicit-def: $vgpr26_vgpr27
                                        ; implicit-def: $vgpr6_vgpr7
                                        ; implicit-def: $vgpr34_vgpr35
                                        ; implicit-def: $vgpr10_vgpr11
                                        ; implicit-def: $vgpr66_vgpr67
                                        ; implicit-def: $vgpr58_vgpr59
                                        ; implicit-def: $vgpr70_vgpr71
                                        ; implicit-def: $vgpr62_vgpr63
                                        ; implicit-def: $vgpr82_vgpr83
                                        ; implicit-def: $vgpr74_vgpr75
                                        ; implicit-def: $vgpr86_vgpr87
                                        ; implicit-def: $vgpr78_vgpr79
                                        ; implicit-def: $vgpr94_vgpr95
                                        ; implicit-def: $vgpr90_vgpr91
	s_xor_b64 exec, exec, s[4:5]
	s_cbranch_execz .LBB0_13
; %bb.12:
	v_mad_u64_u32 v[2:3], s[0:1], s2, v138, 0
	v_add_u32_e32 v7, 0x2f4, v138
	v_mad_u64_u32 v[4:5], s[0:1], s2, v7, 0
	v_mov_b32_e32 v0, v3
	v_mad_u64_u32 v[0:1], s[0:1], s3, v138, v[0:1]
	v_mov_b32_e32 v6, s13
	v_add_u32_e32 v141, 0x7e, v138
	v_mov_b32_e32 v3, v0
	v_add_co_u32_e64 v0, s[0:1], s12, v106
	v_addc_co_u32_e64 v1, s[0:1], v6, v107, s[0:1]
	v_mad_u64_u32 v[5:6], s[0:1], s3, v7, v[5:6]
	v_mad_u64_u32 v[6:7], s[0:1], s2, v140, 0
	v_lshlrev_b64 v[2:3], 4, v[2:3]
	v_add_u32_e32 v139, 0xbd, v138
	v_add_co_u32_e64 v12, s[0:1], v0, v2
	v_addc_co_u32_e64 v13, s[0:1], v1, v3, s[0:1]
	v_lshlrev_b64 v[2:3], 4, v[4:5]
	v_mov_b32_e32 v4, v7
	v_mad_u64_u32 v[4:5], s[0:1], s3, v140, v[4:5]
	v_add_u32_e32 v5, 0x333, v138
	v_mad_u64_u32 v[8:9], s[0:1], s2, v5, 0
	v_add_co_u32_e64 v14, s[0:1], v0, v2
	v_mov_b32_e32 v7, v4
	v_mov_b32_e32 v4, v9
	v_addc_co_u32_e64 v15, s[0:1], v1, v3, s[0:1]
	v_mad_u64_u32 v[4:5], s[0:1], s3, v5, v[4:5]
	v_lshlrev_b64 v[2:3], 4, v[6:7]
	v_mad_u64_u32 v[5:6], s[0:1], s2, v141, 0
	v_add_co_u32_e64 v16, s[0:1], v0, v2
	v_mov_b32_e32 v9, v4
	v_mov_b32_e32 v4, v6
	v_addc_co_u32_e64 v17, s[0:1], v1, v3, s[0:1]
	v_lshlrev_b64 v[2:3], 4, v[8:9]
	v_mad_u64_u32 v[6:7], s[0:1], s3, v141, v[4:5]
	v_add_u32_e32 v9, 0x372, v138
	v_mad_u64_u32 v[7:8], s[0:1], s2, v9, 0
	v_add_co_u32_e64 v18, s[0:1], v0, v2
	v_mov_b32_e32 v4, v8
	v_addc_co_u32_e64 v19, s[0:1], v1, v3, s[0:1]
	v_lshlrev_b64 v[2:3], 4, v[5:6]
	v_mad_u64_u32 v[4:5], s[0:1], s3, v9, v[4:5]
	v_mad_u64_u32 v[5:6], s[0:1], s2, v139, 0
	v_add_co_u32_e64 v20, s[0:1], v0, v2
	v_mov_b32_e32 v8, v4
	v_mov_b32_e32 v4, v6
	v_addc_co_u32_e64 v21, s[0:1], v1, v3, s[0:1]
	v_lshlrev_b64 v[2:3], 4, v[7:8]
	v_mad_u64_u32 v[6:7], s[0:1], s3, v139, v[4:5]
	v_add_u32_e32 v9, 0x3b1, v138
	v_mad_u64_u32 v[7:8], s[0:1], s2, v9, 0
	v_add_co_u32_e64 v22, s[0:1], v0, v2
	v_mov_b32_e32 v4, v8
	v_addc_co_u32_e64 v23, s[0:1], v1, v3, s[0:1]
	v_lshlrev_b64 v[2:3], 4, v[5:6]
	v_mad_u64_u32 v[4:5], s[0:1], s3, v9, v[4:5]
	v_add_u32_e32 v99, 0xfc, v138
	v_mad_u64_u32 v[5:6], s[0:1], s2, v99, 0
	v_add_co_u32_e64 v28, s[0:1], v0, v2
	v_mov_b32_e32 v8, v4
	v_mov_b32_e32 v4, v6
	v_addc_co_u32_e64 v29, s[0:1], v1, v3, s[0:1]
	v_lshlrev_b64 v[2:3], 4, v[7:8]
	v_mad_u64_u32 v[6:7], s[0:1], s3, v99, v[4:5]
	v_add_u32_e32 v9, 0x3f0, v138
	v_mad_u64_u32 v[7:8], s[0:1], s2, v9, 0
	v_add_co_u32_e64 v30, s[0:1], v0, v2
	v_mov_b32_e32 v4, v8
	v_addc_co_u32_e64 v31, s[0:1], v1, v3, s[0:1]
	v_lshlrev_b64 v[2:3], 4, v[5:6]
	v_mad_u64_u32 v[4:5], s[0:1], s3, v9, v[4:5]
	v_add_u32_e32 v96, 0x13b, v138
	;; [unrolled: 15-line block ×8, first 2 shown]
	v_mad_u64_u32 v[5:6], s[0:1], s2, v102, 0
	v_add_co_u32_e64 v116, s[0:1], v0, v2
	v_mov_b32_e32 v8, v4
	v_mov_b32_e32 v4, v6
	v_addc_co_u32_e64 v117, s[0:1], v1, v3, s[0:1]
	v_lshlrev_b64 v[2:3], 4, v[7:8]
	v_mad_u64_u32 v[6:7], s[0:1], s3, v102, v[4:5]
	v_add_u32_e32 v9, 0x5a9, v138
	v_mad_u64_u32 v[7:8], s[0:1], s2, v9, 0
	v_add_co_u32_e64 v118, s[0:1], v0, v2
	v_mov_b32_e32 v4, v8
	v_addc_co_u32_e64 v119, s[0:1], v1, v3, s[0:1]
	v_lshlrev_b64 v[2:3], 4, v[5:6]
	v_mad_u64_u32 v[4:5], s[0:1], s3, v9, v[4:5]
	v_add_co_u32_e64 v120, s[0:1], v0, v2
	v_mov_b32_e32 v8, v4
	v_addc_co_u32_e64 v121, s[0:1], v1, v3, s[0:1]
	v_lshlrev_b64 v[2:3], 4, v[7:8]
	v_mov_b32_e32 v142, v140
	v_add_co_u32_e64 v122, s[0:1], v0, v2
	v_addc_co_u32_e64 v123, s[0:1], v1, v3, s[0:1]
	global_load_dwordx4 v[88:91], v[12:13], off
	global_load_dwordx4 v[92:95], v[14:15], off
	;; [unrolled: 1-line block ×15, first 2 shown]
                                        ; kill: killed $vgpr20 killed $vgpr21
                                        ; kill: killed $vgpr22 killed $vgpr23
                                        ; kill: killed $vgpr48 killed $vgpr49
                                        ; kill: killed $vgpr16 killed $vgpr17
                                        ; kill: killed $vgpr18 killed $vgpr19
                                        ; kill: killed $vgpr44 killed $vgpr45
                                        ; kill: killed $vgpr12 killed $vgpr13
                                        ; kill: killed $vgpr46 killed $vgpr47
                                        ; kill: killed $vgpr14 killed $vgpr15
                                        ; kill: killed $vgpr40 killed $vgpr41
                                        ; kill: killed $vgpr42 killed $vgpr43
                                        ; kill: killed $vgpr36 killed $vgpr37
                                        ; kill: killed $vgpr38 killed $vgpr39
                                        ; kill: killed $vgpr28 killed $vgpr29
                                        ; kill: killed $vgpr30 killed $vgpr31
	global_load_dwordx4 v[52:55], v[104:105], off
	global_load_dwordx4 v[28:31], v[108:109], off
	s_nop 0
	global_load_dwordx4 v[48:51], v[110:111], off
	global_load_dwordx4 v[20:23], v[112:113], off
	;; [unrolled: 1-line block ×7, first 2 shown]
.LBB0_13:
	s_or_b64 exec, exec, s[4:5]
	s_waitcnt vmcnt(22)
	v_add_f64 v[110:111], v[88:89], -v[92:93]
	s_waitcnt vmcnt(18)
	v_add_f64 v[118:119], v[72:73], -v[80:81]
	;; [unrolled: 2-line block ×4, first 2 shown]
	v_add_f64 v[114:115], v[76:77], -v[84:85]
	v_add_f64 v[94:95], v[90:91], -v[94:95]
	s_waitcnt vmcnt(12)
	v_add_f64 v[130:131], v[8:9], -v[32:33]
	v_lshl_add_u32 v132, v138, 4, 0
	v_fma_f64 v[108:109], v[88:89], 2.0, -v[110:111]
	v_fma_f64 v[116:117], v[72:73], 2.0, -v[118:119]
	;; [unrolled: 1-line block ×6, first 2 shown]
	s_waitcnt vmcnt(10)
	v_add_f64 v[90:91], v[4:5], -v[24:25]
	v_lshl_add_u32 v72, v141, 4, 0
	v_lshl_add_u32 v151, v139, 4, 0
	;; [unrolled: 1-line block ×4, first 2 shown]
	ds_write_b128 v132, v[108:111]
	ds_write_b128 v133, v[112:115]
	;; [unrolled: 1-line block ×4, first 2 shown]
	s_waitcnt vmcnt(8)
	v_add_f64 v[110:111], v[0:1], -v[52:53]
	ds_write_b128 v134, v[124:127]
	s_waitcnt vmcnt(6)
	v_add_f64 v[114:115], v[28:29], -v[48:49]
	s_waitcnt vmcnt(4)
	v_add_f64 v[118:119], v[20:21], -v[44:45]
	;; [unrolled: 2-line block ×4, first 2 shown]
	v_add_f64 v[80:81], v[78:79], -v[86:87]
	v_add_f64 v[76:77], v[74:75], -v[82:83]
	v_fma_f64 v[128:129], v[8:9], 2.0, -v[130:131]
	v_fma_f64 v[88:89], v[4:5], 2.0, -v[90:91]
	;; [unrolled: 1-line block ×7, first 2 shown]
	v_lshlrev_b32_e32 v0, 3, v99
	v_lshl_add_u32 v135, v96, 4, 0
	v_sub_u32_e32 v84, v134, v0
	v_lshlrev_b32_e32 v0, 3, v96
	v_fma_f64 v[78:79], v[78:79], 2.0, -v[80:81]
	v_lshl_add_u32 v49, v97, 4, 0
	v_sub_u32_e32 v85, v135, v0
	v_lshlrev_b32_e32 v0, 3, v97
	v_fma_f64 v[74:75], v[74:75], 2.0, -v[76:77]
	ds_write_b128 v135, v[128:131]
	ds_write_b128 v49, v[88:91]
	v_lshl_add_u32 v28, v98, 4, 0
	v_sub_u32_e32 v88, v49, v0
	v_lshlrev_b32_e32 v0, 3, v98
	v_lshl_add_u32 v153, v103, 4, 0
	v_sub_u32_e32 v90, v28, v0
	v_lshlrev_b32_e32 v0, 3, v103
	;; [unrolled: 3-line block ×3, first 2 shown]
	v_add_f64 v[64:65], v[62:63], -v[70:71]
	v_add_f64 v[60:61], v[58:59], -v[66:67]
	v_lshl_add_u32 v155, v101, 4, 0
	v_sub_u32_e32 v29, v154, v0
	v_lshlrev_b32_e32 v0, 3, v101
	v_lshl_add_u32 v143, v138, 3, 0
	v_add_f64 v[52:53], v[10:11], -v[34:35]
	v_lshl_add_u32 v156, v102, 4, 0
	v_sub_u32_e32 v44, v155, v0
	v_lshlrev_b32_e32 v0, 3, v102
	v_lshlrev_b32_e32 v152, 3, v139
	v_add_u32_e32 v150, 0x2800, v143
	v_add_f64 v[56:57], v[6:7], -v[26:27]
	ds_write_b128 v28, v[108:111]
	ds_write_b128 v153, v[112:115]
	;; [unrolled: 1-line block ×5, first 2 shown]
	s_waitcnt lgkmcnt(0)
	; wave barrier
	s_waitcnt lgkmcnt(0)
	v_sub_u32_e32 v45, v156, v0
	v_add_u32_e32 v146, 0x1400, v143
	v_lshl_add_u32 v144, v142, 3, 0
	v_lshl_add_u32 v145, v141, 3, 0
	v_add_u32_e32 v148, 0x1800, v143
	v_sub_u32_e32 v89, v151, v152
	v_add_u32_e32 v149, 0x1c00, v143
	v_add_u32_e32 v147, 0x2000, v143
	;; [unrolled: 1-line block ×3, first 2 shown]
	ds_read_b64 v[104:105], v143
	ds_read_b64 v[136:137], v144
	;; [unrolled: 1-line block ×12, first 2 shown]
	ds_read2_b64 v[108:111], v146 offset0:116 offset1:179
	ds_read2_b64 v[112:115], v148 offset0:114 offset1:177
	;; [unrolled: 1-line block ×6, first 2 shown]
	s_waitcnt lgkmcnt(0)
	; wave barrier
	s_waitcnt lgkmcnt(0)
	ds_write_b128 v132, v[92:95]
	ds_write_b128 v133, v[78:81]
	ds_write_b128 v72, v[74:77]
	v_add_f64 v[72:73], v[2:3], -v[54:55]
	v_add_f64 v[76:77], v[30:31], -v[50:51]
	;; [unrolled: 1-line block ×5, first 2 shown]
	v_fma_f64 v[62:63], v[62:63], 2.0, -v[64:65]
	v_fma_f64 v[58:59], v[58:59], 2.0, -v[60:61]
	;; [unrolled: 1-line block ×9, first 2 shown]
	ds_write_b128 v151, v[62:65]
	ds_write_b128 v134, v[58:61]
	;; [unrolled: 1-line block ×9, first 2 shown]
	v_and_b32_e32 v153, 1, v138
	v_lshlrev_b32_e32 v2, 4, v153
	s_waitcnt lgkmcnt(0)
	; wave barrier
	s_waitcnt lgkmcnt(0)
	global_load_dwordx4 v[49:52], v2, s[8:9]
	v_and_b32_e32 v154, 1, v142
	v_lshlrev_b32_e32 v2, 4, v154
	global_load_dwordx4 v[53:56], v2, s[8:9]
	v_and_b32_e32 v155, 1, v139
	v_lshlrev_b32_e32 v2, 4, v155
	;; [unrolled: 3-line block ×3, first 2 shown]
	v_and_b32_e32 v157, 1, v98
	global_load_dwordx4 v[61:64], v2, s[8:9]
	v_lshlrev_b32_e32 v2, 4, v157
	global_load_dwordx4 v[70:73], v2, s[8:9]
	v_and_b32_e32 v158, 1, v100
	v_lshlrev_b32_e32 v2, 4, v158
	global_load_dwordx4 v[74:77], v2, s[8:9]
	v_and_b32_e32 v159, 1, v102
	v_lshlrev_b32_e32 v2, 4, v159
	global_load_dwordx4 v[78:81], v2, s[8:9]
	ds_read2_b64 v[92:95], v146 offset0:116 offset1:179
	ds_read2_b64 v[132:135], v149 offset0:112 offset1:175
	;; [unrolled: 1-line block ×3, first 2 shown]
	s_movk_i32 s0, 0x7c
	v_lshlrev_b32_e32 v28, 1, v138
	s_movk_i32 s1, 0x2fc
	v_and_b32_e32 v160, 3, v100
	v_and_b32_e32 v161, 3, v101
	;; [unrolled: 1-line block ×5, first 2 shown]
	s_mov_b32 s4, 0xe8584caa
	s_mov_b32 s5, 0xbfebb67a
	;; [unrolled: 1-line block ×4, first 2 shown]
	s_waitcnt vmcnt(6)
	v_mul_f64 v[14:15], v[108:109], v[51:52]
	s_waitcnt lgkmcnt(2)
	v_mul_f64 v[2:3], v[92:93], v[51:52]
	v_mul_f64 v[86:87], v[120:121], v[51:52]
	s_waitcnt vmcnt(5)
	v_mul_f64 v[6:7], v[94:95], v[55:56]
	v_mul_f64 v[10:11], v[110:111], v[55:56]
	s_waitcnt lgkmcnt(0)
	v_mul_f64 v[18:19], v[128:129], v[51:52]
	s_waitcnt vmcnt(4)
	v_mul_f64 v[22:23], v[130:131], v[59:60]
	v_mul_f64 v[26:27], v[114:115], v[59:60]
	v_fma_f64 v[34:35], v[92:93], v[49:50], -v[14:15]
	v_mul_f64 v[14:15], v[132:133], v[51:52]
	v_fma_f64 v[2:3], v[108:109], v[49:50], v[2:3]
	v_fma_f64 v[6:7], v[110:111], v[53:54], v[6:7]
	v_fma_f64 v[10:11], v[94:95], v[53:54], -v[10:11]
	ds_read2_b64 v[53:56], v147 offset0:110 offset1:173
	s_waitcnt vmcnt(3)
	v_mul_f64 v[38:39], v[134:135], v[63:64]
	v_mul_f64 v[42:43], v[118:119], v[63:64]
	v_fma_f64 v[22:23], v[114:115], v[57:58], v[22:23]
	v_fma_f64 v[46:47], v[116:117], v[49:50], v[14:15]
	v_mul_f64 v[14:15], v[116:117], v[51:52]
	v_fma_f64 v[26:27], v[130:131], v[57:58], -v[26:27]
	s_waitcnt vmcnt(2) lgkmcnt(0)
	v_mul_f64 v[63:64], v[55:56], v[72:73]
	ds_read2_b64 v[57:60], v48 offset0:108 offset1:171
	v_mul_f64 v[72:73], v[122:123], v[72:73]
	v_mul_f64 v[82:83], v[53:54], v[51:52]
	v_fma_f64 v[38:39], v[118:119], v[61:62], v[38:39]
	v_fma_f64 v[42:43], v[134:135], v[61:62], -v[42:43]
	s_waitcnt vmcnt(1) lgkmcnt(0)
	v_mul_f64 v[92:93], v[59:60], v[76:77]
	v_fma_f64 v[61:62], v[132:133], v[49:50], -v[14:15]
	v_mul_f64 v[14:15], v[126:127], v[76:77]
	v_add_f64 v[2:3], v[104:105], -v[2:3]
	v_fma_f64 v[63:64], v[122:123], v[70:71], v[63:64]
	v_fma_f64 v[70:71], v[55:56], v[70:71], -v[72:73]
	v_fma_f64 v[72:73], v[120:121], v[49:50], v[82:83]
	v_fma_f64 v[82:83], v[53:54], v[49:50], -v[86:87]
	ds_read2_b64 v[53:56], v150 offset0:106 offset1:169
	v_fma_f64 v[18:19], v[112:113], v[49:50], v[18:19]
	v_add_f64 v[6:7], v[136:137], -v[6:7]
	v_mul_f64 v[30:31], v[112:113], v[51:52]
	v_fma_f64 v[86:87], v[126:127], v[74:75], v[92:93]
	v_mul_f64 v[76:77], v[57:58], v[51:52]
	v_mul_f64 v[92:93], v[124:125], v[51:52]
	s_waitcnt lgkmcnt(0)
	v_mul_f64 v[94:95], v[53:54], v[51:52]
	v_mul_f64 v[51:52], v[66:67], v[51:52]
	s_waitcnt vmcnt(0)
	v_mul_f64 v[108:109], v[55:56], v[80:81]
	v_mul_f64 v[80:81], v[68:69], v[80:81]
	v_fma_f64 v[74:75], v[59:60], v[74:75], -v[14:15]
	v_fma_f64 v[14:15], v[104:105], 2.0, -v[2:3]
	v_add_f64 v[116:117], v[40:41], -v[18:19]
	v_fma_f64 v[18:19], v[136:137], 2.0, -v[6:7]
	v_fma_f64 v[30:31], v[128:129], v[49:50], -v[30:31]
	v_fma_f64 v[59:60], v[124:125], v[49:50], v[76:77]
	v_fma_f64 v[76:77], v[57:58], v[49:50], -v[92:93]
	v_fma_f64 v[57:58], v[66:67], v[49:50], v[94:95]
	v_fma_f64 v[65:66], v[53:54], v[49:50], -v[51:52]
	v_fma_f64 v[49:50], v[68:69], v[78:79], v[108:109]
	v_and_or_b32 v69, v28, s0, v153
	v_lshl_add_u32 v69, v69, 3, 0
	v_fma_f64 v[67:68], v[55:56], v[78:79], -v[80:81]
	ds_read_b64 v[51:52], v143
	ds_read_b64 v[53:54], v144
	;; [unrolled: 1-line block ×12, first 2 shown]
	s_waitcnt lgkmcnt(0)
	; wave barrier
	s_waitcnt lgkmcnt(0)
	ds_write2_b64 v69, v[14:15], v[2:3] offset1:2
	s_movk_i32 s0, 0xfc
	v_lshlrev_b32_e32 v15, 1, v142
	v_add_f64 v[2:3], v[36:37], -v[22:23]
	v_and_or_b32 v14, v15, s0, v154
	v_lshl_add_u32 v122, v14, 3, 0
	ds_write2_b64 v122, v[18:19], v[6:7] offset1:2
	v_add_f64 v[6:7], v[32:33], -v[46:47]
	v_fma_f64 v[22:23], v[40:41], 2.0, -v[116:117]
	s_movk_i32 s0, 0x1fc
	v_lshlrev_b32_e32 v19, 1, v141
	v_fma_f64 v[36:37], v[36:37], 2.0, -v[2:3]
	v_add_f64 v[38:39], v[24:25], -v[38:39]
	v_and_or_b32 v14, v19, s0, v153
	v_lshl_add_u32 v123, v14, 3, 0
	v_fma_f64 v[32:33], v[32:33], 2.0, -v[6:7]
	ds_write2_b64 v123, v[22:23], v[116:117] offset1:2
	v_lshlrev_b32_e32 v22, 1, v139
	v_and_or_b32 v14, v22, s0, v155
	v_lshl_add_u32 v124, v14, 3, 0
	ds_write2_b64 v124, v[36:37], v[2:3] offset1:2
	s_movk_i32 s0, 0x3fc
	v_lshlrev_b32_e32 v14, 1, v99
	v_add_f64 v[2:3], v[20:21], -v[72:73]
	v_and_or_b32 v18, v14, s0, v153
	v_lshl_add_u32 v125, v18, 3, 0
	v_fma_f64 v[24:25], v[24:25], 2.0, -v[38:39]
	ds_write2_b64 v125, v[32:33], v[6:7] offset1:2
	v_add_f64 v[6:7], v[12:13], -v[63:64]
	v_lshlrev_b32_e32 v23, 1, v96
	v_and_or_b32 v18, v23, s1, v156
	v_fma_f64 v[20:21], v[20:21], 2.0, -v[2:3]
	v_lshl_add_u32 v126, v18, 3, 0
	v_lshlrev_b32_e32 v18, 1, v97
	ds_write2_b64 v126, v[24:25], v[38:39] offset1:2
	v_add_f64 v[24:25], v[16:17], -v[59:60]
	v_fma_f64 v[12:13], v[12:13], 2.0, -v[6:7]
	v_and_or_b32 v32, v18, s0, v153
	v_lshl_add_u32 v127, v32, 3, 0
	ds_write2_b64 v127, v[20:21], v[2:3] offset1:2
	v_lshlrev_b32_e32 v20, 1, v98
	v_and_or_b32 v2, v20, s0, v157
	v_lshl_add_u32 v128, v2, 3, 0
	v_fma_f64 v[2:3], v[16:17], 2.0, -v[24:25]
	ds_write2_b64 v128, v[12:13], v[6:7] offset1:2
	v_add_f64 v[6:7], v[8:9], -v[86:87]
	v_add_f64 v[12:13], v[0:1], -v[57:58]
	v_lshlrev_b32_e32 v21, 1, v103
	v_add_f64 v[46:47], v[51:52], -v[34:35]
	v_add_f64 v[32:33], v[4:5], -v[49:50]
	s_movk_i32 s0, 0x7fc
	v_and_or_b32 v16, v21, s0, v153
	v_add_f64 v[72:73], v[53:54], -v[10:11]
	v_lshl_add_u32 v103, v16, 3, 0
	v_add_f64 v[116:117], v[55:56], -v[30:31]
	ds_write2_b64 v103, v[2:3], v[24:25] offset1:2
	v_add_f64 v[25:26], v[78:79], -v[26:27]
	v_fma_f64 v[2:3], v[8:9], 2.0, -v[6:7]
	v_fma_f64 v[0:1], v[0:1], 2.0, -v[12:13]
	;; [unrolled: 1-line block ×4, first 2 shown]
	v_lshlrev_b32_e32 v24, 1, v100
	s_movk_i32 s0, 0x4fc
	v_fma_f64 v[118:119], v[53:54], 2.0, -v[72:73]
	v_and_or_b32 v8, v24, s0, v158
	v_fma_f64 v[120:121], v[55:56], 2.0, -v[116:117]
	v_lshlrev_b32_e32 v17, 1, v101
	v_lshl_add_u32 v129, v8, 3, 0
	s_movk_i32 s0, 0x5fc
	v_fma_f64 v[78:79], v[78:79], 2.0, -v[25:26]
	ds_write2_b64 v129, v[2:3], v[6:7] offset1:2
	v_and_or_b32 v2, v17, s0, v153
	v_lshlrev_b32_e32 v16, 1, v102
	v_lshl_add_u32 v130, v2, 3, 0
	ds_write2_b64 v130, v[0:1], v[12:13] offset1:2
	v_and_or_b32 v0, v16, s0, v159
	v_lshl_add_u32 v131, v0, 3, 0
	ds_write2_b64 v131, v[4:5], v[32:33] offset1:2
	s_waitcnt lgkmcnt(0)
	; wave barrier
	s_waitcnt lgkmcnt(0)
	ds_read_b64 v[86:87], v143
	ds_read_b64 v[132:133], v144
	;; [unrolled: 1-line block ×12, first 2 shown]
	ds_read2_b64 v[30:33], v146 offset0:116 offset1:179
	ds_read2_b64 v[34:37], v148 offset0:114 offset1:177
	;; [unrolled: 1-line block ×6, first 2 shown]
	s_waitcnt lgkmcnt(0)
	; wave barrier
	s_waitcnt lgkmcnt(0)
	ds_write2_b64 v69, v[63:64], v[46:47] offset1:2
	ds_write2_b64 v122, v[118:119], v[72:73] offset1:2
	;; [unrolled: 1-line block ×4, first 2 shown]
	v_add_f64 v[25:26], v[80:81], -v[61:62]
	v_add_f64 v[42:43], v[92:93], -v[42:43]
	v_add_f64 v[46:47], v[94:95], -v[82:83]
	v_add_f64 v[61:62], v[104:105], -v[70:71]
	v_add_f64 v[63:64], v[108:109], -v[76:77]
	v_add_f64 v[69:70], v[110:111], -v[74:75]
	v_add_f64 v[65:66], v[112:113], -v[65:66]
	v_add_f64 v[67:68], v[114:115], -v[67:68]
	v_fma_f64 v[71:72], v[80:81], 2.0, -v[25:26]
	v_fma_f64 v[73:74], v[92:93], 2.0, -v[42:43]
	v_fma_f64 v[75:76], v[94:95], 2.0, -v[46:47]
	v_fma_f64 v[77:78], v[104:105], 2.0, -v[61:62]
	v_fma_f64 v[79:80], v[108:109], 2.0, -v[63:64]
	v_fma_f64 v[81:82], v[110:111], 2.0, -v[69:70]
	v_fma_f64 v[92:93], v[112:113], 2.0, -v[65:66]
	v_fma_f64 v[94:95], v[114:115], 2.0, -v[67:68]
	v_and_b32_e32 v27, 3, v141
	ds_write2_b64 v125, v[71:72], v[25:26] offset1:2
	ds_write2_b64 v126, v[73:74], v[42:43] offset1:2
	;; [unrolled: 1-line block ×8, first 2 shown]
	v_lshlrev_b32_e32 v25, 4, v27
	v_and_b32_e32 v83, 3, v139
	s_waitcnt lgkmcnt(0)
	; wave barrier
	s_waitcnt lgkmcnt(0)
	global_load_dwordx4 v[61:64], v25, s[8:9] offset:32
	v_lshlrev_b32_e32 v25, 4, v83
	global_load_dwordx4 v[65:68], v25, s[8:9] offset:32
	v_and_b32_e32 v155, 3, v97
	v_lshlrev_b32_e32 v25, 4, v155
	v_and_b32_e32 v156, 3, v98
	global_load_dwordx4 v[69:72], v25, s[8:9] offset:32
	v_lshlrev_b32_e32 v25, 4, v156
	v_and_b32_e32 v157, 3, v142
	global_load_dwordx4 v[73:76], v25, s[8:9] offset:32
	v_lshlrev_b32_e32 v25, 4, v157
	global_load_dwordx4 v[77:80], v25, s[8:9] offset:32
	v_and_b32_e32 v158, 3, v138
	v_lshlrev_b32_e32 v25, 4, v158
	global_load_dwordx4 v[92:95], v25, s[8:9] offset:32
	v_and_b32_e32 v159, 3, v96
	v_lshlrev_b32_e32 v25, 4, v159
	global_load_dwordx4 v[108:111], v25, s[8:9] offset:32
	v_lshlrev_b32_e32 v25, 4, v160
	global_load_dwordx4 v[112:115], v25, s[8:9] offset:32
	v_lshlrev_b32_e32 v25, 4, v161
	global_load_dwordx4 v[100:103], v25, s[8:9] offset:32
	v_lshlrev_b32_e32 v25, 4, v162
	global_load_dwordx4 v[116:119], v25, s[8:9] offset:32
	ds_read2_b64 v[120:123], v148 offset0:114 offset1:177
	ds_read2_b64 v[124:127], v147 offset0:110 offset1:173
	;; [unrolled: 1-line block ×3, first 2 shown]
	s_movk_i32 s0, 0x78
	s_movk_i32 s1, 0x2f8
	s_waitcnt vmcnt(9) lgkmcnt(2)
	v_mul_f64 v[25:26], v[120:121], v[63:64]
	v_mul_f64 v[42:43], v[34:35], v[63:64]
	s_waitcnt vmcnt(8)
	v_mul_f64 v[46:47], v[122:123], v[67:68]
	s_waitcnt vmcnt(7) lgkmcnt(1)
	v_mul_f64 v[63:64], v[124:125], v[71:72]
	v_fma_f64 v[25:26], v[34:35], v[61:62], v[25:26]
	v_mul_f64 v[34:35], v[36:37], v[67:68]
	v_mul_f64 v[67:68], v[49:50], v[71:72]
	s_waitcnt vmcnt(6)
	v_mul_f64 v[71:72], v[126:127], v[75:76]
	v_mul_f64 v[75:76], v[51:52], v[75:76]
	v_fma_f64 v[42:43], v[120:121], v[61:62], -v[42:43]
	v_fma_f64 v[61:62], v[36:37], v[65:66], v[46:47]
	s_waitcnt vmcnt(5) lgkmcnt(0)
	v_mul_f64 v[46:47], v[130:131], v[79:80]
	v_fma_f64 v[63:64], v[49:50], v[69:70], v[63:64]
	v_fma_f64 v[65:66], v[122:123], v[65:66], -v[34:35]
	v_fma_f64 v[67:68], v[124:125], v[69:70], -v[67:68]
	v_fma_f64 v[50:51], v[51:52], v[73:74], v[71:72]
	v_fma_f64 v[69:70], v[126:127], v[73:74], -v[75:76]
	v_mul_f64 v[71:72], v[32:33], v[79:80]
	ds_read2_b64 v[34:37], v149 offset0:112 offset1:175
	v_fma_f64 v[73:74], v[32:33], v[77:78], v[46:47]
	s_waitcnt vmcnt(4)
	v_mul_f64 v[32:33], v[128:129], v[94:95]
	ds_read2_b64 v[46:49], v48 offset0:108 offset1:171
	s_waitcnt vmcnt(3)
	v_mul_f64 v[81:82], v[40:41], v[110:111]
	s_waitcnt lgkmcnt(1)
	v_mul_f64 v[79:80], v[36:37], v[110:111]
	v_mul_f64 v[104:105], v[34:35], v[94:95]
	;; [unrolled: 1-line block ×3, first 2 shown]
	v_fma_f64 v[71:72], v[130:131], v[77:78], -v[71:72]
	s_waitcnt lgkmcnt(0)
	v_mul_f64 v[77:78], v[46:47], v[94:95]
	v_fma_f64 v[120:121], v[30:31], v[92:93], v[32:33]
	v_mul_f64 v[75:76], v[30:31], v[94:95]
	ds_read2_b64 v[30:33], v150 offset0:106 offset1:169
	v_fma_f64 v[40:41], v[40:41], v[108:109], v[79:80]
	v_fma_f64 v[79:80], v[36:37], v[108:109], -v[81:82]
	v_fma_f64 v[36:37], v[38:39], v[92:93], v[104:105]
	v_fma_f64 v[81:82], v[34:35], v[92:93], -v[110:111]
	v_fma_f64 v[34:35], v[53:54], v[92:93], v[77:78]
	v_mul_f64 v[38:39], v[53:54], v[94:95]
	s_waitcnt vmcnt(2)
	v_mul_f64 v[52:53], v[48:49], v[114:115]
	s_waitcnt vmcnt(1) lgkmcnt(0)
	v_mul_f64 v[94:95], v[30:31], v[102:103]
	v_add_f64 v[110:111], v[86:87], -v[120:121]
	v_mul_f64 v[77:78], v[55:56], v[114:115]
	v_mul_f64 v[102:103], v[57:58], v[102:103]
	s_waitcnt vmcnt(0)
	v_mul_f64 v[104:105], v[32:33], v[118:119]
	v_mul_f64 v[108:109], v[59:60], v[118:119]
	v_fma_f64 v[46:47], v[46:47], v[92:93], -v[38:39]
	v_fma_f64 v[38:39], v[55:56], v[112:113], v[52:53]
	v_fma_f64 v[52:53], v[57:58], v[100:101], v[94:95]
	v_fma_f64 v[56:57], v[86:87], 2.0, -v[110:111]
	v_add_f64 v[73:74], v[132:133], -v[73:74]
	v_add_f64 v[25:26], v[134:135], -v[25:26]
	v_fma_f64 v[75:76], v[128:129], v[92:93], -v[75:76]
	v_fma_f64 v[48:49], v[48:49], v[112:113], -v[77:78]
	v_fma_f64 v[30:31], v[30:31], v[100:101], -v[102:103]
	v_fma_f64 v[54:55], v[59:60], v[116:117], v[104:105]
	ds_read_b64 v[58:59], v44
	ds_read_b64 v[77:78], v45
	;; [unrolled: 1-line block ×8, first 2 shown]
	v_and_or_b32 v29, v28, s0, v158
	v_lshl_add_u32 v29, v29, 3, 0
	v_fma_f64 v[32:33], v[32:33], v[116:117], -v[108:109]
	ds_read_b64 v[104:105], v84
	ds_read_b64 v[108:109], v85
	;; [unrolled: 1-line block ×4, first 2 shown]
	s_waitcnt lgkmcnt(0)
	; wave barrier
	s_waitcnt lgkmcnt(0)
	v_fma_f64 v[116:117], v[132:133], 2.0, -v[73:74]
	ds_write2_b64 v29, v[56:57], v[110:111] offset1:4
	v_add_f64 v[56:57], v[136:137], -v[61:62]
	v_fma_f64 v[60:61], v[134:135], 2.0, -v[25:26]
	v_add_f64 v[36:37], v[153:154], -v[36:37]
	s_movk_i32 s0, 0xf8
	v_and_or_b32 v15, v15, s0, v157
	s_movk_i32 s0, 0x1f8
	v_lshl_add_u32 v110, v15, 3, 0
	v_and_or_b32 v15, v19, s0, v27
	v_lshl_add_u32 v111, v15, 3, 0
	v_and_or_b32 v15, v22, s0, v83
	s_movk_i32 s0, 0x3f8
	ds_write2_b64 v110, v[116:117], v[73:74] offset1:4
	v_fma_f64 v[73:74], v[136:137], 2.0, -v[56:57]
	ds_write2_b64 v111, v[60:61], v[25:26] offset1:4
	v_fma_f64 v[25:26], v[153:154], 2.0, -v[36:37]
	v_add_f64 v[40:41], v[4:5], -v[40:41]
	v_and_or_b32 v14, v14, s0, v158
	v_lshl_add_u32 v116, v14, 3, 0
	v_and_or_b32 v14, v23, s1, v159
	v_lshl_add_u32 v83, v15, 3, 0
	v_lshl_add_u32 v117, v14, 3, 0
	v_add_f64 v[14:15], v[0:1], -v[63:64]
	ds_write2_b64 v83, v[73:74], v[56:57] offset1:4
	ds_write2_b64 v116, v[25:26], v[36:37] offset1:4
	v_fma_f64 v[4:5], v[4:5], 2.0, -v[40:41]
	v_add_f64 v[56:57], v[44:45], -v[75:76]
	v_add_f64 v[22:23], v[2:3], -v[50:51]
	;; [unrolled: 1-line block ×7, first 2 shown]
	v_fma_f64 v[0:1], v[0:1], 2.0, -v[14:15]
	v_add_f64 v[71:72], v[94:95], -v[42:43]
	v_add_f64 v[64:65], v[102:103], -v[65:66]
	ds_write2_b64 v117, v[4:5], v[40:41] offset1:4
	v_fma_f64 v[60:61], v[44:45], 2.0, -v[56:57]
	v_fma_f64 v[2:3], v[2:3], 2.0, -v[22:23]
	;; [unrolled: 1-line block ×6, first 2 shown]
	v_and_or_b32 v12, v18, s0, v155
	v_lshl_add_u32 v50, v12, 3, 0
	v_fma_f64 v[73:74], v[92:93], 2.0, -v[62:63]
	ds_write2_b64 v50, v[0:1], v[14:15] offset1:4
	v_and_or_b32 v0, v20, s0, v156
	s_movk_i32 s0, 0x7f8
	v_fma_f64 v[75:76], v[94:95], 2.0, -v[71:72]
	v_lshl_add_u32 v118, v0, 3, 0
	v_and_or_b32 v0, v21, s0, v158
	s_movk_i32 s0, 0x4f8
	v_fma_f64 v[102:103], v[102:103], 2.0, -v[64:65]
	v_lshl_add_u32 v119, v0, 3, 0
	v_and_or_b32 v0, v24, s0, v160
	s_movk_i32 s0, 0x5f8
	v_lshl_add_u32 v120, v0, 3, 0
	v_and_or_b32 v0, v17, s0, v161
	v_lshl_add_u32 v121, v0, 3, 0
	v_and_or_b32 v0, v16, s0, v162
	v_lshl_add_u32 v122, v0, 3, 0
	v_add_u32_e32 v153, 0x1000, v143
	ds_write2_b64 v118, v[2:3], v[22:23] offset1:4
	ds_write2_b64 v119, v[4:5], v[25:26] offset1:4
	;; [unrolled: 1-line block ×5, first 2 shown]
	s_waitcnt lgkmcnt(0)
	; wave barrier
	s_waitcnt lgkmcnt(0)
	ds_read_b64 v[20:21], v143
	ds_read2_b64 v[0:3], v148 offset0:177 offset1:240
	ds_read2_b64 v[34:37], v153 offset0:55 offset1:118
	;; [unrolled: 1-line block ×3, first 2 shown]
	ds_read_b64 v[16:17], v89
	ds_read_b64 v[14:15], v84
	;; [unrolled: 1-line block ×8, first 2 shown]
	ds_read_b64 v[26:27], v143 offset:11592
	ds_read2_b64 v[42:45], v153 offset0:181 offset1:244
	ds_read2_b64 v[51:54], v147 offset0:173 offset1:236
	;; [unrolled: 1-line block ×4, first 2 shown]
	s_waitcnt lgkmcnt(0)
	; wave barrier
	s_waitcnt lgkmcnt(0)
	ds_write2_b64 v29, v[60:61], v[56:57] offset1:4
	ds_write2_b64 v110, v[73:74], v[62:63] offset1:4
	;; [unrolled: 1-line block ×4, first 2 shown]
	v_add_f64 v[55:56], v[104:105], -v[81:82]
	v_add_f64 v[60:61], v[108:109], -v[79:80]
	;; [unrolled: 1-line block ×8, first 2 shown]
	v_fma_f64 v[66:67], v[104:105], 2.0, -v[55:56]
	v_fma_f64 v[68:69], v[108:109], 2.0, -v[60:61]
	;; [unrolled: 1-line block ×8, first 2 shown]
	ds_write2_b64 v116, v[66:67], v[55:56] offset1:4
	ds_write2_b64 v117, v[68:69], v[60:61] offset1:4
	;; [unrolled: 1-line block ×8, first 2 shown]
	v_and_b32_e32 v29, 7, v142
	v_lshlrev_b32_e32 v31, 5, v29
	s_waitcnt lgkmcnt(0)
	; wave barrier
	s_waitcnt lgkmcnt(0)
	global_load_dwordx4 v[46:49], v31, s[8:9] offset:96
	v_and_b32_e32 v30, 7, v141
	v_lshlrev_b32_e32 v32, 5, v30
	global_load_dwordx4 v[55:58], v32, s[8:9] offset:96
	global_load_dwordx4 v[61:64], v31, s[8:9] offset:112
	;; [unrolled: 1-line block ×3, first 2 shown]
	v_and_b32_e32 v31, 7, v139
	v_lshlrev_b32_e32 v33, 5, v31
	v_and_b32_e32 v32, 7, v99
	global_load_dwordx4 v[69:72], v33, s[8:9] offset:96
	v_lshlrev_b32_e32 v50, 5, v32
	global_load_dwordx4 v[75:78], v50, s[8:9] offset:96
	global_load_dwordx4 v[79:82], v33, s[8:9] offset:112
	;; [unrolled: 1-line block ×3, first 2 shown]
	v_and_b32_e32 v83, 7, v96
	v_lshlrev_b32_e32 v50, 5, v83
	global_load_dwordx4 v[108:111], v50, s[8:9] offset:96
	v_and_b32_e32 v33, 7, v97
	v_lshlrev_b32_e32 v59, 5, v33
	global_load_dwordx4 v[112:115], v59, s[8:9] offset:96
	global_load_dwordx4 v[116:119], v50, s[8:9] offset:112
	global_load_dwordx4 v[120:123], v59, s[8:9] offset:112
	v_lshlrev_b32_e32 v50, 5, v166
	global_load_dwordx4 v[124:127], v50, s[8:9] offset:112
	global_load_dwordx4 v[128:131], v50, s[8:9] offset:96
	v_lshlrev_b32_e32 v50, 5, v167
	global_load_dwordx4 v[132:135], v50, s[8:9] offset:96
	global_load_dwordx4 v[154:157], v50, s[8:9] offset:112
	ds_read2_b64 v[158:161], v153 offset0:55 offset1:118
	ds_read2_b64 v[162:165], v147 offset0:47 offset1:110
	s_movk_i32 s0, 0xab
	s_mov_b32 s1, 0xaaab
	s_waitcnt vmcnt(15) lgkmcnt(1)
	v_mul_f64 v[59:60], v[158:159], v[48:49]
	v_mul_f64 v[48:49], v[34:35], v[48:49]
	s_waitcnt vmcnt(14)
	v_mul_f64 v[73:74], v[160:161], v[57:58]
	v_mul_f64 v[57:58], v[36:37], v[57:58]
	s_waitcnt vmcnt(13) lgkmcnt(0)
	v_mul_f64 v[104:105], v[162:163], v[63:64]
	v_fma_f64 v[86:87], v[34:35], v[46:47], v[59:60]
	v_fma_f64 v[136:137], v[158:159], v[46:47], -v[48:49]
	v_fma_f64 v[49:50], v[36:37], v[55:56], v[73:74]
	v_mul_f64 v[46:47], v[38:39], v[63:64]
	ds_read2_b64 v[34:37], v153 offset0:181 offset1:244
	s_waitcnt vmcnt(12)
	v_mul_f64 v[63:64], v[164:165], v[67:68]
	v_mul_f64 v[67:68], v[40:41], v[67:68]
	v_fma_f64 v[59:60], v[160:161], v[55:56], -v[57:58]
	v_fma_f64 v[104:105], v[38:39], v[61:62], v[104:105]
	s_waitcnt vmcnt(11) lgkmcnt(0)
	v_mul_f64 v[55:56], v[34:35], v[71:72]
	v_mul_f64 v[71:72], v[42:43], v[71:72]
	s_waitcnt vmcnt(10)
	v_mul_f64 v[158:159], v[36:37], v[77:78]
	v_fma_f64 v[160:161], v[162:163], v[61:62], -v[46:47]
	v_fma_f64 v[61:62], v[40:41], v[65:66], v[63:64]
	ds_read2_b64 v[38:41], v147 offset0:173 offset1:236
	v_mul_f64 v[46:47], v[44:45], v[77:78]
	v_fma_f64 v[57:58], v[164:165], v[65:66], -v[67:68]
	v_fma_f64 v[67:68], v[42:43], v[69:70], v[55:56]
	v_fma_f64 v[73:74], v[34:35], v[69:70], -v[71:72]
	v_fma_f64 v[63:64], v[44:45], v[75:76], v[158:159]
	s_waitcnt vmcnt(9) lgkmcnt(0)
	v_mul_f64 v[34:35], v[38:39], v[81:82]
	ds_read2_b64 v[42:45], v148 offset0:51 offset1:114
	v_mul_f64 v[55:56], v[51:52], v[81:82]
	s_waitcnt vmcnt(8)
	v_mul_f64 v[65:66], v[40:41], v[102:103]
	v_fma_f64 v[77:78], v[36:37], v[75:76], -v[46:47]
	s_waitcnt vmcnt(7)
	v_mul_f64 v[71:72], v[92:93], v[110:111]
	s_waitcnt lgkmcnt(0)
	v_mul_f64 v[46:47], v[42:43], v[110:111]
	v_mul_f64 v[69:70], v[53:54], v[102:103]
	s_waitcnt vmcnt(6)
	v_mul_f64 v[102:103], v[44:45], v[114:115]
	v_fma_f64 v[81:82], v[51:52], v[79:80], v[34:35]
	ds_read2_b64 v[34:37], v150 offset0:43 offset1:106
	v_fma_f64 v[75:76], v[38:39], v[79:80], -v[55:56]
	v_fma_f64 v[79:80], v[53:54], v[100:101], v[65:66]
	v_fma_f64 v[55:56], v[42:43], v[108:109], -v[71:72]
	v_fma_f64 v[53:54], v[92:93], v[108:109], v[46:47]
	v_mul_f64 v[42:43], v[94:95], v[114:115]
	s_waitcnt vmcnt(5) lgkmcnt(0)
	v_mul_f64 v[46:47], v[34:35], v[118:119]
	v_fma_f64 v[69:70], v[40:41], v[100:101], -v[69:70]
	v_fma_f64 v[51:52], v[94:95], v[112:113], v[102:103]
	ds_read2_b64 v[38:41], v148 offset0:177 offset1:240
	ds_read_b64 v[102:103], v91
	v_mul_f64 v[92:93], v[4:5], v[118:119]
	s_waitcnt vmcnt(4)
	v_mul_f64 v[94:95], v[36:37], v[122:123]
	v_fma_f64 v[65:66], v[44:45], v[112:113], -v[42:43]
	ds_read_b64 v[42:43], v143 offset:11592
	s_waitcnt vmcnt(3) lgkmcnt(2)
	v_mul_f64 v[108:109], v[40:41], v[126:127]
	v_fma_f64 v[71:72], v[4:5], v[116:117], v[46:47]
	ds_read_b64 v[110:111], v90
	s_waitcnt vmcnt(2) lgkmcnt(2)
	v_mul_f64 v[4:5], v[102:103], v[130:131]
	v_mul_f64 v[100:101], v[6:7], v[122:123]
	v_fma_f64 v[92:93], v[34:35], v[116:117], -v[92:93]
	v_fma_f64 v[94:95], v[6:7], v[120:121], v[94:95]
	s_waitcnt vmcnt(1)
	v_mul_f64 v[34:35], v[38:39], v[134:135]
	v_fma_f64 v[6:7], v[2:3], v[124:125], v[108:109]
	v_mul_f64 v[2:3], v[2:3], v[126:127]
	s_waitcnt vmcnt(0) lgkmcnt(1)
	v_mul_f64 v[46:47], v[42:43], v[156:157]
	v_fma_f64 v[4:5], v[24:25], v[128:129], v[4:5]
	v_mul_f64 v[24:25], v[24:25], v[130:131]
	v_fma_f64 v[100:101], v[36:37], v[120:121], -v[100:101]
	v_mul_f64 v[36:37], v[0:1], v[134:135]
	v_fma_f64 v[116:117], v[0:1], v[132:133], v[34:35]
	v_mul_f64 v[114:115], v[26:27], v[156:157]
	v_fma_f64 v[2:3], v[40:41], v[124:125], -v[2:3]
	ds_read_b64 v[108:109], v145
	ds_read_b64 v[112:113], v144
	;; [unrolled: 1-line block ×3, first 2 shown]
	v_add_f64 v[0:1], v[4:5], v[6:7]
	v_fma_f64 v[24:25], v[102:103], v[128:129], -v[24:25]
	v_add_f64 v[34:35], v[20:21], v[4:5]
	v_fma_f64 v[102:103], v[26:27], v[154:155], v[46:47]
	v_lshrrev_b32_e32 v26, 3, v138
	v_mul_u32_u24_e32 v26, 24, v26
	v_fma_f64 v[118:119], v[38:39], v[132:133], -v[36:37]
	v_or_b32_e32 v38, v26, v166
	v_fma_f64 v[0:1], v[0:1], -0.5, v[20:21]
	v_add_f64 v[26:27], v[24:25], -v[2:3]
	v_add_f64 v[20:21], v[34:35], v[6:7]
	v_add_f64 v[34:35], v[86:87], v[104:105]
	v_fma_f64 v[114:115], v[42:43], v[154:155], -v[114:115]
	v_lshl_add_u32 v154, v38, 3, 0
	v_add_f64 v[38:39], v[49:50], v[61:62]
	ds_read_b64 v[120:121], v89
	ds_read_b64 v[122:123], v84
	;; [unrolled: 1-line block ×4, first 2 shown]
	s_waitcnt lgkmcnt(0)
	v_fma_f64 v[36:37], v[26:27], s[4:5], v[0:1]
	v_fma_f64 v[0:1], v[26:27], s[6:7], v[0:1]
	v_fma_f64 v[26:27], v[34:35], -0.5, v[22:23]
	v_add_f64 v[22:23], v[22:23], v[86:87]
	v_add_f64 v[34:35], v[136:137], -v[160:161]
	; wave barrier
	v_add_f64 v[132:133], v[4:5], -v[6:7]
	v_add_f64 v[4:5], v[136:137], v[160:161]
	ds_write2_b64 v154, v[20:21], v[36:37] offset1:8
	v_lshrrev_b32_e32 v20, 3, v142
	v_mul_lo_u32 v36, v20, 24
	ds_write_b64 v154, v[0:1] offset:128
	v_add_f64 v[0:1], v[22:23], v[104:105]
	v_fma_f64 v[20:21], v[34:35], s[4:5], v[26:27]
	v_or_b32_e32 v29, v36, v29
	v_fma_f64 v[22:23], v[38:39], -0.5, v[18:19]
	v_add_f64 v[18:19], v[18:19], v[49:50]
	v_add_f64 v[36:37], v[59:60], -v[57:58]
	v_fma_f64 v[26:27], v[34:35], s[6:7], v[26:27]
	v_add_f64 v[34:35], v[67:68], v[81:82]
	v_lshl_add_u32 v155, v29, 3, 0
	ds_write2_b64 v155, v[0:1], v[20:21] offset1:8
	v_lshrrev_b32_e32 v0, 3, v141
	v_mul_lo_u32 v20, v0, 24
	v_add_f64 v[0:1], v[18:19], v[61:62]
	v_fma_f64 v[18:19], v[36:37], s[4:5], v[22:23]
	ds_write_b64 v155, v[26:27] offset:128
	v_or_b32_e32 v29, v20, v30
	v_fma_f64 v[20:21], v[34:35], -0.5, v[16:17]
	v_add_f64 v[16:17], v[16:17], v[67:68]
	v_add_f64 v[26:27], v[73:74], -v[75:76]
	v_lshl_add_u32 v156, v29, 3, 0
	v_fma_f64 v[22:23], v[36:37], s[6:7], v[22:23]
	ds_write2_b64 v156, v[0:1], v[18:19] offset1:8
	v_add_f64 v[0:1], v[63:64], v[79:80]
	v_lshrrev_b32_e32 v18, 3, v139
	v_mul_lo_u32 v29, v18, 24
	v_add_f64 v[16:17], v[16:17], v[81:82]
	v_fma_f64 v[18:19], v[26:27], s[4:5], v[20:21]
	v_fma_f64 v[20:21], v[26:27], s[6:7], v[20:21]
	v_or_b32_e32 v26, v29, v31
	ds_write_b64 v156, v[22:23] offset:128
	v_fma_f64 v[0:1], v[0:1], -0.5, v[14:15]
	v_add_f64 v[14:15], v[14:15], v[63:64]
	v_add_f64 v[22:23], v[77:78], -v[69:70]
	v_lshl_add_u32 v157, v26, 3, 0
	ds_write2_b64 v157, v[16:17], v[18:19] offset1:8
	v_add_f64 v[16:17], v[53:54], v[71:72]
	v_lshrrev_b32_e32 v18, 3, v99
	ds_write_b64 v157, v[20:21] offset:128
	v_mul_lo_u32 v20, v18, 24
	v_add_f64 v[14:15], v[14:15], v[79:80]
	v_fma_f64 v[18:19], v[22:23], s[4:5], v[0:1]
	v_fma_f64 v[0:1], v[22:23], s[6:7], v[0:1]
	v_or_b32_e32 v22, v20, v32
	v_fma_f64 v[16:17], v[16:17], -0.5, v[12:13]
	v_add_f64 v[12:13], v[12:13], v[53:54]
	v_add_f64 v[20:21], v[55:56], -v[92:93]
	v_lshl_add_u32 v158, v22, 3, 0
	v_add_f64 v[22:23], v[51:52], v[94:95]
	ds_write2_b64 v158, v[14:15], v[18:19] offset1:8
	ds_write_b64 v158, v[0:1] offset:128
	v_lshrrev_b32_e32 v0, 3, v96
	v_mul_lo_u32 v26, v0, 24
	v_add_f64 v[18:19], v[65:66], -v[100:101]
	v_add_f64 v[0:1], v[12:13], v[71:72]
	v_fma_f64 v[12:13], v[20:21], s[4:5], v[16:17]
	v_fma_f64 v[14:15], v[20:21], s[6:7], v[16:17]
	v_fma_f64 v[16:17], v[22:23], -0.5, v[10:11]
	v_add_f64 v[10:11], v[10:11], v[51:52]
	v_or_b32_e32 v20, v26, v83
	v_lshl_add_u32 v83, v20, 3, 0
	ds_write2_b64 v83, v[0:1], v[12:13] offset1:8
	ds_write_b64 v83, v[14:15] offset:128
	v_lshrrev_b32_e32 v12, 3, v97
	v_mul_lo_u32 v22, v12, 24
	v_add_f64 v[0:1], v[10:11], v[94:95]
	v_fma_f64 v[10:11], v[18:19], s[4:5], v[16:17]
	v_add_f64 v[20:21], v[116:117], v[102:103]
	v_or_b32_e32 v22, v22, v33
	v_lshl_add_u32 v159, v22, 3, 0
	v_add_f64 v[12:13], v[44:45], v[24:25]
	v_add_f64 v[134:135], v[112:113], v[136:137]
	v_fma_f64 v[112:113], v[4:5], -0.5, v[112:113]
	v_add_f64 v[86:87], v[86:87], -v[104:105]
	ds_write2_b64 v159, v[0:1], v[10:11] offset1:8
	v_add_f64 v[0:1], v[24:25], v[2:3]
	v_fma_f64 v[14:15], v[20:21], -0.5, v[8:9]
	v_add_f64 v[20:21], v[118:119], -v[114:115]
	v_add_f64 v[8:9], v[8:9], v[116:117]
	v_add_f64 v[128:129], v[12:13], v[2:3]
	v_fma_f64 v[2:3], v[18:19], s[6:7], v[16:17]
	v_add_f64 v[49:50], v[49:50], -v[61:62]
	v_add_f64 v[61:62], v[120:121], v[73:74]
	v_fma_f64 v[130:131], v[0:1], -0.5, v[44:45]
	v_add_f64 v[67:68], v[67:68], -v[81:82]
	v_fma_f64 v[10:11], v[20:21], s[4:5], v[14:15]
	v_add_f64 v[8:9], v[8:9], v[102:103]
	v_fma_f64 v[12:13], v[20:21], s[6:7], v[14:15]
	v_lshrrev_b32_e32 v14, 3, v98
	v_mul_lo_u32 v14, v14, 24
	ds_write_b64 v159, v[2:3] offset:128
	v_fma_f64 v[104:105], v[132:133], s[6:7], v[130:131]
	v_fma_f64 v[130:131], v[132:133], s[4:5], v[130:131]
	v_add_f64 v[132:133], v[134:135], v[160:161]
	v_fma_f64 v[134:135], v[86:87], s[6:7], v[112:113]
	v_fma_f64 v[86:87], v[86:87], s[4:5], v[112:113]
	v_or_b32_e32 v0, v14, v167
	v_lshl_add_u32 v162, v0, 3, 0
	ds_write2_b64 v162, v[8:9], v[10:11] offset1:8
	ds_write_b64 v162, v[12:13] offset:128
	s_waitcnt lgkmcnt(0)
	; wave barrier
	s_waitcnt lgkmcnt(0)
	ds_read_b64 v[41:42], v143
	ds_read_b64 v[37:38], v89
	;; [unrolled: 1-line block ×9, first 2 shown]
	ds_read_b64 v[47:48], v143 offset:11592
	ds_read2_b64 v[0:3], v148 offset0:177 offset1:240
	ds_read2_b64 v[24:27], v153 offset0:55 offset1:118
	;; [unrolled: 1-line block ×7, first 2 shown]
	s_waitcnt lgkmcnt(0)
	; wave barrier
	s_waitcnt lgkmcnt(0)
	ds_write2_b64 v154, v[128:129], v[104:105] offset1:8
	ds_write_b64 v154, v[130:131] offset:128
	v_add_f64 v[104:105], v[73:74], v[75:76]
	ds_write2_b64 v155, v[132:133], v[134:135] offset1:8
	ds_write_b64 v155, v[86:87] offset:128
	v_add_f64 v[86:87], v[77:78], v[69:70]
	v_add_f64 v[112:113], v[59:60], v[57:58]
	;; [unrolled: 1-line block ×3, first 2 shown]
	v_add_f64 v[63:64], v[63:64], -v[79:80]
	v_add_f64 v[79:80], v[55:56], v[92:93]
	v_add_f64 v[59:60], v[108:109], v[59:60]
	v_fma_f64 v[73:74], v[104:105], -0.5, v[120:121]
	v_add_f64 v[61:62], v[61:62], v[75:76]
	v_fma_f64 v[81:82], v[86:87], -0.5, v[122:123]
	v_fma_f64 v[108:109], v[112:113], -0.5, v[108:109]
	v_add_f64 v[69:70], v[77:78], v[69:70]
	v_add_f64 v[55:56], v[124:125], v[55:56]
	v_fma_f64 v[79:80], v[79:80], -0.5, v[124:125]
	v_add_f64 v[53:54], v[53:54], -v[71:72]
	v_fma_f64 v[75:76], v[67:68], s[6:7], v[73:74]
	v_fma_f64 v[67:68], v[67:68], s[4:5], v[73:74]
	v_add_f64 v[73:74], v[65:66], v[100:101]
	v_fma_f64 v[77:78], v[63:64], s[6:7], v[81:82]
	v_fma_f64 v[63:64], v[63:64], s[4:5], v[81:82]
	v_add_f64 v[81:82], v[118:119], v[114:115]
	v_add_f64 v[57:58], v[59:60], v[57:58]
	v_fma_f64 v[59:60], v[49:50], s[6:7], v[108:109]
	v_add_f64 v[65:66], v[126:127], v[65:66]
	v_add_f64 v[51:52], v[51:52], -v[94:95]
	v_fma_f64 v[71:72], v[73:74], -0.5, v[126:127]
	v_add_f64 v[73:74], v[110:111], v[118:119]
	v_add_f64 v[86:87], v[116:117], -v[102:103]
	v_fma_f64 v[81:82], v[81:82], -0.5, v[110:111]
	v_fma_f64 v[49:50], v[49:50], s[4:5], v[108:109]
	v_add_f64 v[55:56], v[55:56], v[92:93]
	v_fma_f64 v[92:93], v[53:54], s[6:7], v[79:80]
	v_fma_f64 v[53:54], v[53:54], s[4:5], v[79:80]
	v_add_f64 v[65:66], v[65:66], v[100:101]
	v_fma_f64 v[79:80], v[51:52], s[6:7], v[71:72]
	v_fma_f64 v[51:52], v[51:52], s[4:5], v[71:72]
	v_add_f64 v[71:72], v[73:74], v[114:115]
	v_fma_f64 v[73:74], v[86:87], s[6:7], v[81:82]
	v_fma_f64 v[81:82], v[86:87], s[4:5], v[81:82]
	ds_write2_b64 v156, v[57:58], v[59:60] offset1:8
	ds_write_b64 v156, v[49:50] offset:128
	ds_write2_b64 v157, v[61:62], v[75:76] offset1:8
	ds_write_b64 v157, v[67:68] offset:128
	;; [unrolled: 2-line block ×6, first 2 shown]
	v_mul_lo_u16_sdwa v49, v142, s0 dst_sel:DWORD dst_unused:UNUSED_PAD src0_sel:BYTE_0 src1_sel:DWORD
	v_lshrrev_b16_e32 v52, 12, v49
	v_mul_lo_u16_e32 v49, 24, v52
	v_mov_b32_e32 v50, 5
	v_sub_u16_e32 v49, v142, v49
	v_lshlrev_b32_sdwa v51, v50, v49 dst_sel:DWORD dst_unused:UNUSED_PAD src0_sel:DWORD src1_sel:BYTE_0
	s_waitcnt lgkmcnt(0)
	; wave barrier
	s_waitcnt lgkmcnt(0)
	global_load_dwordx4 v[59:62], v51, s[8:9] offset:352
	v_mul_lo_u16_sdwa v53, v141, s0 dst_sel:DWORD dst_unused:UNUSED_PAD src0_sel:BYTE_0 src1_sel:DWORD
	v_lshrrev_b16_e32 v54, 12, v53
	v_mul_lo_u16_e32 v53, 24, v54
	v_sub_u16_e32 v53, v141, v53
	v_lshlrev_b32_sdwa v55, v50, v53 dst_sel:DWORD dst_unused:UNUSED_PAD src0_sel:DWORD src1_sel:BYTE_0
	global_load_dwordx4 v[63:66], v55, s[8:9] offset:352
	global_load_dwordx4 v[67:70], v51, s[8:9] offset:368
	;; [unrolled: 1-line block ×3, first 2 shown]
	v_mul_lo_u16_sdwa v51, v139, s0 dst_sel:DWORD dst_unused:UNUSED_PAD src0_sel:BYTE_0 src1_sel:DWORD
	v_lshrrev_b16_e32 v56, 12, v51
	v_mul_lo_u16_e32 v51, 24, v56
	v_sub_u16_e32 v55, v139, v51
	v_lshlrev_b32_sdwa v51, v50, v55 dst_sel:DWORD dst_unused:UNUSED_PAD src0_sel:DWORD src1_sel:BYTE_0
	global_load_dwordx4 v[75:78], v51, s[8:9] offset:352
	global_load_dwordx4 v[79:82], v51, s[8:9] offset:368
	v_mul_u32_u24_sdwa v51, v99, s1 dst_sel:DWORD dst_unused:UNUSED_PAD src0_sel:WORD_0 src1_sel:DWORD
	v_lshrrev_b32_e32 v57, 20, v51
	v_mul_lo_u16_e32 v51, 24, v57
	v_sub_u16_e32 v58, v99, v51
	v_lshlrev_b32_e32 v51, 5, v58
	global_load_dwordx4 v[92:95], v51, s[8:9] offset:352
	global_load_dwordx4 v[100:103], v51, s[8:9] offset:368
	v_mul_u32_u24_sdwa v51, v96, s1 dst_sel:DWORD dst_unused:UNUSED_PAD src0_sel:WORD_0 src1_sel:DWORD
	v_lshrrev_b32_e32 v83, 20, v51
	v_mul_lo_u16_e32 v51, 24, v83
	v_sub_u16_e32 v168, v96, v51
	v_lshlrev_b32_e32 v51, 5, v168
	global_load_dwordx4 v[108:111], v51, s[8:9] offset:352
	v_mul_u32_u24_sdwa v86, v97, s1 dst_sel:DWORD dst_unused:UNUSED_PAD src0_sel:WORD_0 src1_sel:DWORD
	v_lshrrev_b32_e32 v169, 20, v86
	v_mul_lo_u16_e32 v86, 24, v169
	v_sub_u16_e32 v170, v97, v86
	v_lshlrev_b32_e32 v86, 5, v170
	global_load_dwordx4 v[112:115], v86, s[8:9] offset:352
	global_load_dwordx4 v[116:119], v51, s[8:9] offset:368
	;; [unrolled: 1-line block ×3, first 2 shown]
	v_mul_lo_u16_sdwa v51, v138, s0 dst_sel:DWORD dst_unused:UNUSED_PAD src0_sel:BYTE_0 src1_sel:DWORD
	v_lshrrev_b16_e32 v51, 12, v51
	v_mul_lo_u16_e32 v86, 24, v51
	v_sub_u16_e32 v171, v138, v86
	v_lshlrev_b32_sdwa v86, v50, v171 dst_sel:DWORD dst_unused:UNUSED_PAD src0_sel:DWORD src1_sel:BYTE_0
	global_load_dwordx4 v[124:127], v86, s[8:9] offset:368
	global_load_dwordx4 v[128:131], v86, s[8:9] offset:352
	v_mul_u32_u24_sdwa v86, v98, s1 dst_sel:DWORD dst_unused:UNUSED_PAD src0_sel:WORD_0 src1_sel:DWORD
	v_lshrrev_b32_e32 v172, 20, v86
	v_mul_lo_u16_e32 v86, 24, v172
	v_sub_u16_e32 v173, v98, v86
	v_lshlrev_b32_e32 v86, 5, v173
	global_load_dwordx4 v[132:135], v86, s[8:9] offset:352
	global_load_dwordx4 v[154:157], v86, s[8:9] offset:368
	ds_read2_b64 v[158:161], v153 offset0:55 offset1:118
	ds_read2_b64 v[162:165], v147 offset0:47 offset1:110
	v_cmp_gt_u32_e64 s[0:1], 9, v138
	s_waitcnt vmcnt(15) lgkmcnt(1)
	v_mul_f64 v[86:87], v[158:159], v[61:62]
	v_mul_f64 v[61:62], v[24:25], v[61:62]
	s_waitcnt vmcnt(14)
	v_mul_f64 v[104:105], v[160:161], v[65:66]
	v_fma_f64 v[86:87], v[24:25], v[59:60], v[86:87]
	v_fma_f64 v[136:137], v[158:159], v[59:60], -v[61:62]
	v_mul_f64 v[24:25], v[26:27], v[65:66]
	ds_read2_b64 v[59:62], v153 offset0:181 offset1:244
	s_waitcnt vmcnt(13) lgkmcnt(1)
	v_mul_f64 v[65:66], v[162:163], v[69:70]
	v_mul_f64 v[69:70], v[20:21], v[69:70]
	s_waitcnt vmcnt(12)
	v_mul_f64 v[158:159], v[164:165], v[73:74]
	v_mul_f64 v[73:74], v[22:23], v[73:74]
	s_waitcnt vmcnt(11) lgkmcnt(0)
	v_mul_f64 v[166:167], v[59:60], v[77:78]
	v_mul_f64 v[77:78], v[16:17], v[77:78]
	v_fma_f64 v[104:105], v[26:27], v[63:64], v[104:105]
	v_fma_f64 v[63:64], v[160:161], v[63:64], -v[24:25]
	ds_read2_b64 v[24:27], v147 offset0:173 offset1:236
	v_fma_f64 v[65:66], v[20:21], v[67:68], v[65:66]
	v_fma_f64 v[67:68], v[162:163], v[67:68], -v[69:70]
	v_fma_f64 v[69:70], v[22:23], v[71:72], v[158:159]
	v_fma_f64 v[71:72], v[164:165], v[71:72], -v[73:74]
	v_fma_f64 v[73:74], v[16:17], v[75:76], v[166:167]
	s_waitcnt vmcnt(10) lgkmcnt(0)
	v_mul_f64 v[16:17], v[24:25], v[81:82]
	v_fma_f64 v[59:60], v[59:60], v[75:76], -v[77:78]
	v_mul_f64 v[75:76], v[12:13], v[81:82]
	ds_read2_b64 v[20:23], v148 offset0:51 offset1:114
	s_waitcnt vmcnt(9)
	v_mul_f64 v[77:78], v[61:62], v[94:95]
	v_mul_f64 v[81:82], v[18:19], v[94:95]
	s_waitcnt vmcnt(8)
	v_mul_f64 v[94:95], v[26:27], v[102:103]
	v_mul_f64 v[102:103], v[14:15], v[102:103]
	v_fma_f64 v[158:159], v[12:13], v[79:80], v[16:17]
	s_waitcnt vmcnt(7) lgkmcnt(0)
	v_mul_f64 v[16:17], v[20:21], v[110:111]
	v_fma_f64 v[75:76], v[24:25], v[79:80], -v[75:76]
	v_mul_f64 v[24:25], v[8:9], v[110:111]
	v_fma_f64 v[77:78], v[18:19], v[92:93], v[77:78]
	v_fma_f64 v[61:62], v[61:62], v[92:93], -v[81:82]
	v_fma_f64 v[79:80], v[14:15], v[100:101], v[94:95]
	v_fma_f64 v[81:82], v[26:27], v[100:101], -v[102:103]
	ds_read2_b64 v[12:15], v150 offset0:43 offset1:106
	v_fma_f64 v[92:93], v[8:9], v[108:109], v[16:17]
	s_waitcnt vmcnt(6)
	v_mul_f64 v[8:9], v[22:23], v[114:115]
	v_fma_f64 v[94:95], v[20:21], v[108:109], -v[24:25]
	v_mul_f64 v[20:21], v[10:11], v[114:115]
	ds_read2_b64 v[16:19], v148 offset0:177 offset1:240
	ds_read_b64 v[102:103], v91
	s_waitcnt vmcnt(5) lgkmcnt(2)
	v_mul_f64 v[24:25], v[12:13], v[118:119]
	v_mul_f64 v[26:27], v[4:5], v[118:119]
	s_waitcnt vmcnt(4)
	v_mul_f64 v[100:101], v[14:15], v[122:123]
	v_fma_f64 v[108:109], v[10:11], v[112:113], v[8:9]
	s_waitcnt vmcnt(3) lgkmcnt(1)
	v_mul_f64 v[8:9], v[18:19], v[126:127]
	v_fma_f64 v[110:111], v[22:23], v[112:113], -v[20:21]
	ds_read_b64 v[20:21], v143 offset:11592
	ds_read_b64 v[112:113], v90
	s_waitcnt vmcnt(2) lgkmcnt(2)
	v_mul_f64 v[10:11], v[102:103], v[130:131]
	v_fma_f64 v[114:115], v[4:5], v[116:117], v[24:25]
	v_fma_f64 v[116:117], v[12:13], v[116:117], -v[26:27]
	v_fma_f64 v[100:101], v[6:7], v[120:121], v[100:101]
	v_mul_f64 v[4:5], v[6:7], v[122:123]
	v_fma_f64 v[6:7], v[2:3], v[124:125], v[8:9]
	v_mul_f64 v[2:3], v[2:3], v[126:127]
	v_mul_f64 v[12:13], v[45:46], v[130:131]
	v_fma_f64 v[10:11], v[45:46], v[128:129], v[10:11]
	s_waitcnt vmcnt(1)
	v_mul_f64 v[8:9], v[16:17], v[134:135]
	v_mul_f64 v[22:23], v[0:1], v[134:135]
	s_waitcnt vmcnt(0) lgkmcnt(1)
	v_mul_f64 v[26:27], v[20:21], v[156:157]
	ds_read_b64 v[118:119], v145
	ds_read_b64 v[122:123], v144
	;; [unrolled: 1-line block ×3, first 2 shown]
	v_add_f64 v[160:161], v[63:64], v[71:72]
	v_fma_f64 v[2:3], v[18:19], v[124:125], -v[2:3]
	v_fma_f64 v[12:13], v[102:103], v[128:129], -v[12:13]
	v_add_f64 v[45:46], v[10:11], v[6:7]
	v_mul_f64 v[18:19], v[47:48], v[156:157]
	v_fma_f64 v[102:103], v[14:15], v[120:121], -v[4:5]
	v_fma_f64 v[120:121], v[0:1], v[132:133], v[8:9]
	v_add_f64 v[4:5], v[41:42], v[10:11]
	v_add_f64 v[14:15], v[86:87], v[65:66]
	v_fma_f64 v[124:125], v[16:17], v[132:133], -v[22:23]
	v_add_f64 v[8:9], v[12:13], -v[2:3]
	v_fma_f64 v[0:1], v[45:46], -0.5, v[41:42]
	v_mul_u32_u24_e32 v16, 0x240, v51
	v_mov_b32_e32 v51, 3
	v_lshlrev_b32_sdwa v17, v51, v171 dst_sel:DWORD dst_unused:UNUSED_PAD src0_sel:DWORD src1_sel:BYTE_0
	v_fma_f64 v[128:129], v[20:21], v[154:155], -v[18:19]
	v_add3_u32 v162, 0, v16, v17
	v_add_f64 v[4:5], v[4:5], v[6:7]
	v_add_f64 v[18:19], v[136:137], -v[67:68]
	v_fma_f64 v[16:17], v[8:9], s[4:5], v[0:1]
	v_fma_f64 v[0:1], v[8:9], s[6:7], v[0:1]
	v_fma_f64 v[8:9], v[14:15], -0.5, v[43:44]
	v_add_f64 v[14:15], v[43:44], v[86:87]
	v_add_f64 v[20:21], v[104:105], v[69:70]
	v_fma_f64 v[126:127], v[47:48], v[154:155], v[26:27]
	ds_read_b64 v[130:131], v89
	ds_read_b64 v[132:133], v84
	;; [unrolled: 1-line block ×4, first 2 shown]
	s_waitcnt lgkmcnt(0)
	; wave barrier
	s_waitcnt lgkmcnt(0)
	ds_write2_b64 v162, v[4:5], v[16:17] offset1:24
	ds_write_b64 v162, v[0:1] offset:384
	v_fma_f64 v[4:5], v[18:19], s[4:5], v[8:9]
	v_add_f64 v[0:1], v[14:15], v[65:66]
	v_fma_f64 v[8:9], v[18:19], s[6:7], v[8:9]
	v_fma_f64 v[14:15], v[20:21], -0.5, v[39:40]
	v_add_f64 v[16:17], v[39:40], v[104:105]
	v_add_f64 v[18:19], v[63:64], -v[71:72]
	v_add_f64 v[20:21], v[73:74], v[158:159]
	v_mul_u32_u24_e32 v22, 0x240, v52
	v_lshlrev_b32_sdwa v23, v51, v49 dst_sel:DWORD dst_unused:UNUSED_PAD src0_sel:DWORD src1_sel:BYTE_0
	v_add3_u32 v163, 0, v22, v23
	ds_write2_b64 v163, v[0:1], v[4:5] offset1:24
	ds_write_b64 v163, v[8:9] offset:384
	v_mul_u32_u24_e32 v22, 0x240, v54
	v_add_f64 v[0:1], v[16:17], v[69:70]
	v_fma_f64 v[4:5], v[18:19], s[4:5], v[14:15]
	v_fma_f64 v[8:9], v[18:19], s[6:7], v[14:15]
	v_fma_f64 v[14:15], v[20:21], -0.5, v[37:38]
	v_add_f64 v[16:17], v[37:38], v[73:74]
	v_add_f64 v[18:19], v[59:60], -v[75:76]
	v_add_f64 v[20:21], v[77:78], v[79:80]
	v_lshlrev_b32_sdwa v23, v51, v53 dst_sel:DWORD dst_unused:UNUSED_PAD src0_sel:DWORD src1_sel:BYTE_0
	v_add3_u32 v164, 0, v22, v23
	ds_write2_b64 v164, v[0:1], v[4:5] offset1:24
	ds_write_b64 v164, v[8:9] offset:384
	v_mul_u32_u24_e32 v22, 0x240, v56
	v_lshlrev_b32_sdwa v23, v51, v55 dst_sel:DWORD dst_unused:UNUSED_PAD src0_sel:DWORD src1_sel:BYTE_0
	v_add_f64 v[0:1], v[16:17], v[158:159]
	v_fma_f64 v[4:5], v[18:19], s[4:5], v[14:15]
	v_fma_f64 v[8:9], v[18:19], s[6:7], v[14:15]
	v_fma_f64 v[14:15], v[20:21], -0.5, v[35:36]
	v_add_f64 v[16:17], v[35:36], v[77:78]
	v_add_f64 v[18:19], v[61:62], -v[81:82]
	v_add_f64 v[20:21], v[92:93], v[114:115]
	v_add3_u32 v165, 0, v22, v23
	ds_write2_b64 v165, v[0:1], v[4:5] offset1:24
	ds_write_b64 v165, v[8:9] offset:384
	v_mul_u32_u24_e32 v22, 0x240, v57
	v_lshlrev_b32_e32 v23, 3, v58
	v_add_f64 v[0:1], v[16:17], v[79:80]
	v_fma_f64 v[4:5], v[18:19], s[4:5], v[14:15]
	v_fma_f64 v[8:9], v[18:19], s[6:7], v[14:15]
	v_fma_f64 v[14:15], v[20:21], -0.5, v[33:34]
	v_add_f64 v[18:19], v[94:95], -v[116:117]
	v_add_f64 v[16:17], v[33:34], v[92:93]
	v_add3_u32 v166, 0, v22, v23
	ds_write2_b64 v166, v[0:1], v[4:5] offset1:24
	ds_write_b64 v166, v[8:9] offset:384
	v_add_f64 v[20:21], v[108:109], v[100:101]
	v_add_f64 v[22:23], v[120:121], v[126:127]
	v_fma_f64 v[4:5], v[18:19], s[4:5], v[14:15]
	v_fma_f64 v[14:15], v[18:19], s[6:7], v[14:15]
	v_add_f64 v[0:1], v[16:17], v[114:115]
	v_add_f64 v[16:17], v[31:32], v[108:109]
	v_mul_u32_u24_e32 v26, 0x240, v83
	v_lshlrev_b32_e32 v27, 3, v168
	v_add3_u32 v167, 0, v26, v27
	v_fma_f64 v[8:9], v[20:21], -0.5, v[31:32]
	v_add_f64 v[20:21], v[110:111], -v[102:103]
	ds_write_b64 v167, v[14:15] offset:384
	v_mul_u32_u24_e32 v14, 0x240, v169
	v_lshlrev_b32_e32 v15, 3, v170
	ds_write2_b64 v167, v[0:1], v[4:5] offset1:24
	v_add_f64 v[0:1], v[16:17], v[100:101]
	v_fma_f64 v[16:17], v[22:23], -0.5, v[29:30]
	v_add_f64 v[18:19], v[29:30], v[120:121]
	v_add3_u32 v29, 0, v14, v15
	v_add_f64 v[14:15], v[24:25], v[12:13]
	v_add_f64 v[12:13], v[12:13], v[2:3]
	v_fma_f64 v[4:5], v[20:21], s[4:5], v[8:9]
	v_add_f64 v[22:23], v[124:125], -v[128:129]
	v_fma_f64 v[8:9], v[20:21], s[6:7], v[8:9]
	v_add_f64 v[56:57], v[10:11], -v[6:7]
	v_add_f64 v[156:157], v[136:137], v[67:68]
	v_add_f64 v[136:137], v[122:123], v[136:137]
	;; [unrolled: 1-line block ×3, first 2 shown]
	v_fma_f64 v[54:55], v[12:13], -0.5, v[24:25]
	ds_write2_b64 v29, v[0:1], v[4:5] offset1:24
	v_add_f64 v[0:1], v[18:19], v[126:127]
	v_fma_f64 v[4:5], v[22:23], s[4:5], v[16:17]
	ds_write_b64 v29, v[8:9] offset:384
	v_fma_f64 v[8:9], v[22:23], s[6:7], v[16:17]
	v_fma_f64 v[122:123], v[156:157], -0.5, v[122:123]
	v_add_f64 v[65:66], v[86:87], -v[65:66]
	v_fma_f64 v[86:87], v[56:57], s[6:7], v[54:55]
	v_fma_f64 v[54:55], v[56:57], s[4:5], v[54:55]
	v_add_f64 v[63:64], v[118:119], v[63:64]
	v_fma_f64 v[118:119], v[160:161], -0.5, v[118:119]
	v_add_f64 v[69:70], v[104:105], -v[69:70]
	v_mul_u32_u24_e32 v16, 0x240, v172
	v_lshlrev_b32_e32 v17, 3, v173
	v_add3_u32 v168, 0, v16, v17
	ds_write2_b64 v168, v[0:1], v[4:5] offset1:24
	ds_write_b64 v168, v[8:9] offset:384
	s_waitcnt lgkmcnt(0)
	; wave barrier
	s_waitcnt lgkmcnt(0)
	ds_read_b64 v[44:45], v143
	ds_read_b64 v[38:39], v89
	;; [unrolled: 1-line block ×9, first 2 shown]
	ds_read_b64 v[48:49], v143 offset:11592
	ds_read2_b64 v[0:3], v148 offset0:177 offset1:240
	ds_read2_b64 v[24:27], v153 offset0:55 offset1:118
	ds_read2_b64 v[16:19], v147 offset0:47 offset1:110
	ds_read2_b64 v[20:23], v153 offset0:181 offset1:244
	ds_read2_b64 v[12:15], v147 offset0:173 offset1:236
	ds_read2_b64 v[8:11], v148 offset0:51 offset1:114
	ds_read2_b64 v[4:7], v150 offset0:43 offset1:106
	s_waitcnt lgkmcnt(0)
	; wave barrier
	s_waitcnt lgkmcnt(0)
	v_add_f64 v[56:57], v[136:137], v[67:68]
	v_fma_f64 v[67:68], v[65:66], s[6:7], v[122:123]
	ds_write2_b64 v162, v[52:53], v[86:87] offset1:24
	v_add_f64 v[52:53], v[59:60], v[75:76]
	v_fma_f64 v[65:66], v[65:66], s[4:5], v[122:123]
	ds_write_b64 v162, v[54:55] offset:384
	v_add_f64 v[54:55], v[61:62], v[81:82]
	v_add_f64 v[63:64], v[63:64], v[71:72]
	v_fma_f64 v[71:72], v[69:70], s[6:7], v[118:119]
	ds_write2_b64 v163, v[56:57], v[67:68] offset1:24
	v_add_f64 v[56:57], v[130:131], v[59:60]
	v_fma_f64 v[52:53], v[52:53], -0.5, v[130:131]
	v_add_f64 v[58:59], v[73:74], -v[158:159]
	v_add_f64 v[60:61], v[132:133], v[61:62]
	ds_write_b64 v163, v[65:66] offset:384
	ds_write2_b64 v164, v[63:64], v[71:72] offset1:24
	v_fma_f64 v[54:55], v[54:55], -0.5, v[132:133]
	v_add_f64 v[62:63], v[77:78], -v[79:80]
	v_fma_f64 v[64:65], v[69:70], s[4:5], v[118:119]
	v_add_f64 v[68:69], v[94:95], v[116:117]
	v_fma_f64 v[66:67], v[58:59], s[6:7], v[52:53]
	v_fma_f64 v[52:53], v[58:59], s[4:5], v[52:53]
	v_add_f64 v[58:59], v[60:61], v[81:82]
	v_add_f64 v[60:61], v[110:111], v[102:103]
	;; [unrolled: 1-line block ×3, first 2 shown]
	v_fma_f64 v[70:71], v[62:63], s[6:7], v[54:55]
	v_fma_f64 v[54:55], v[62:63], s[4:5], v[54:55]
	v_add_f64 v[62:63], v[124:125], v[128:129]
	v_add_f64 v[72:73], v[134:135], v[94:95]
	v_fma_f64 v[68:69], v[68:69], -0.5, v[134:135]
	v_add_f64 v[74:75], v[92:93], -v[114:115]
	v_add_f64 v[76:77], v[154:155], v[110:111]
	v_fma_f64 v[60:61], v[60:61], -0.5, v[154:155]
	v_add_f64 v[78:79], v[108:109], -v[100:101]
	;; [unrolled: 3-line block ×3, first 2 shown]
	v_add_f64 v[72:73], v[72:73], v[116:117]
	v_fma_f64 v[86:87], v[74:75], s[6:7], v[68:69]
	v_fma_f64 v[68:69], v[74:75], s[4:5], v[68:69]
	v_add_f64 v[74:75], v[76:77], v[102:103]
	v_fma_f64 v[76:77], v[78:79], s[6:7], v[60:61]
	v_fma_f64 v[60:61], v[78:79], s[4:5], v[60:61]
	;; [unrolled: 3-line block ×3, first 2 shown]
	ds_write_b64 v164, v[64:65] offset:384
	ds_write2_b64 v165, v[56:57], v[66:67] offset1:24
	ds_write_b64 v165, v[52:53] offset:384
	ds_write2_b64 v166, v[58:59], v[70:71] offset1:24
	;; [unrolled: 2-line block ×5, first 2 shown]
	ds_write_b64 v168, v[62:63] offset:384
	v_mov_b32_e32 v29, 0
	v_lshlrev_b64 v[64:65], 4, v[28:29]
	v_add_u32_e32 v28, -9, v138
	v_cndmask_b32_e64 v82, v28, v142, s[0:1]
	v_lshlrev_b32_e32 v28, 1, v82
	v_lshlrev_b64 v[28:29], 4, v[28:29]
	v_mov_b32_e32 v68, s9
	v_add_co_u32_e64 v66, s[0:1], s8, v28
	v_addc_co_u32_e64 v67, s[0:1], v68, v29, s[0:1]
	s_waitcnt lgkmcnt(0)
	; wave barrier
	s_waitcnt lgkmcnt(0)
	global_load_dwordx4 v[52:55], v[66:67], off offset:1120
	v_mov_b32_e32 v69, 57
	v_mul_lo_u16_sdwa v28, v141, v69 dst_sel:DWORD dst_unused:UNUSED_PAD src0_sel:BYTE_0 src1_sel:DWORD
	v_lshrrev_b16_e32 v28, 12, v28
	v_mul_lo_u16_e32 v29, 0x48, v28
	v_sub_u16_e32 v29, v141, v29
	v_lshlrev_b32_sdwa v70, v50, v29 dst_sel:DWORD dst_unused:UNUSED_PAD src0_sel:DWORD src1_sel:BYTE_0
	global_load_dwordx4 v[56:59], v70, s[8:9] offset:1120
	global_load_dwordx4 v[60:63], v[66:67], off offset:1136
	global_load_dwordx4 v[76:79], v70, s[8:9] offset:1136
	v_mul_lo_u16_sdwa v66, v139, v69 dst_sel:DWORD dst_unused:UNUSED_PAD src0_sel:BYTE_0 src1_sel:DWORD
	v_lshrrev_b16_e32 v83, 12, v66
	v_mul_lo_u16_e32 v66, 0x48, v83
	v_sub_u16_e32 v170, v139, v66
	v_lshlrev_b32_sdwa v50, v50, v170 dst_sel:DWORD dst_unused:UNUSED_PAD src0_sel:DWORD src1_sel:BYTE_0
	global_load_dwordx4 v[92:95], v50, s[8:9] offset:1120
	s_mov_b32 s0, 0xe38f
	v_mul_u32_u24_sdwa v66, v99, s0 dst_sel:DWORD dst_unused:UNUSED_PAD src0_sel:WORD_0 src1_sel:DWORD
	v_lshrrev_b32_e32 v171, 22, v66
	v_mul_lo_u16_e32 v66, 0x48, v171
	v_sub_u16_e32 v172, v99, v66
	v_lshlrev_b32_e32 v66, 5, v172
	global_load_dwordx4 v[99:102], v66, s[8:9] offset:1120
	global_load_dwordx4 v[108:111], v50, s[8:9] offset:1136
	;; [unrolled: 1-line block ×3, first 2 shown]
	v_mul_u32_u24_sdwa v50, v96, s0 dst_sel:DWORD dst_unused:UNUSED_PAD src0_sel:WORD_0 src1_sel:DWORD
	v_lshrrev_b32_e32 v50, 22, v50
	v_mul_lo_u16_e32 v66, 0x48, v50
	v_sub_u16_e32 v173, v96, v66
	v_lshlrev_b32_e32 v66, 5, v173
	global_load_dwordx4 v[116:119], v66, s[8:9] offset:1120
	v_mul_u32_u24_sdwa v67, v97, s0 dst_sel:DWORD dst_unused:UNUSED_PAD src0_sel:WORD_0 src1_sel:DWORD
	v_mul_u32_u24_sdwa v69, v98, s0 dst_sel:DWORD dst_unused:UNUSED_PAD src0_sel:WORD_0 src1_sel:DWORD
	v_lshrrev_b32_e32 v174, 22, v67
	v_lshrrev_b32_e32 v69, 22, v69
	v_mul_lo_u16_e32 v67, 0x48, v174
	v_mul_lo_u16_e32 v69, 0x48, v69
	v_sub_u16_e32 v175, v97, v67
	v_sub_u16_e32 v176, v98, v69
	v_lshlrev_b32_e32 v67, 5, v175
	global_load_dwordx4 v[126:129], v67, s[8:9] offset:1120
	v_lshlrev_b32_e32 v69, 5, v176
	global_load_dwordx4 v[130:133], v69, s[8:9] offset:1120
	global_load_dwordx4 v[134:137], v69, s[8:9] offset:1136
	v_add_co_u32_e64 v64, s[0:1], s8, v64
	v_addc_co_u32_e64 v65, s[0:1], v68, v65, s[0:1]
	global_load_dwordx4 v[154:157], v[64:65], off offset:1136
	global_load_dwordx4 v[158:161], v[64:65], off offset:1120
	global_load_dwordx4 v[162:165], v66, s[8:9] offset:1136
	global_load_dwordx4 v[166:169], v67, s[8:9] offset:1136
	ds_read2_b64 v[70:73], v153 offset0:55 offset1:118
	ds_read2_b64 v[120:123], v147 offset0:47 offset1:110
	v_cmp_lt_u32_e64 s[0:1], 8, v138
	s_waitcnt vmcnt(15) lgkmcnt(1)
	v_mul_f64 v[64:65], v[70:71], v[54:55]
	v_mul_f64 v[54:55], v[24:25], v[54:55]
	s_waitcnt vmcnt(13)
	v_mul_f64 v[80:81], v[16:17], v[62:63]
	s_waitcnt vmcnt(12) lgkmcnt(0)
	v_mul_f64 v[86:87], v[122:123], v[78:79]
	v_fma_f64 v[66:67], v[24:25], v[52:53], v[64:65]
	v_mul_f64 v[24:25], v[72:73], v[58:59]
	v_mul_f64 v[58:59], v[26:27], v[58:59]
	v_fma_f64 v[70:71], v[70:71], v[52:53], -v[54:55]
	ds_read2_b64 v[52:55], v153 offset0:181 offset1:244
	v_mul_f64 v[64:65], v[120:121], v[62:63]
	v_mul_f64 v[78:79], v[18:19], v[78:79]
	v_fma_f64 v[62:63], v[26:27], v[56:57], v[24:25]
	v_fma_f64 v[68:69], v[72:73], v[56:57], -v[58:59]
	s_waitcnt vmcnt(11) lgkmcnt(0)
	v_mul_f64 v[56:57], v[52:53], v[94:95]
	v_mul_f64 v[58:59], v[20:21], v[94:95]
	v_fma_f64 v[74:75], v[16:17], v[60:61], v[64:65]
	v_fma_f64 v[60:61], v[120:121], v[60:61], -v[80:81]
	v_fma_f64 v[72:73], v[18:19], v[76:77], v[86:87]
	v_fma_f64 v[16:17], v[122:123], v[76:77], -v[78:79]
	ds_read2_b64 v[24:27], v147 offset0:173 offset1:236
	s_waitcnt vmcnt(9)
	v_mul_f64 v[76:77], v[12:13], v[110:111]
	v_fma_f64 v[18:19], v[20:21], v[92:93], v[56:57]
	v_mul_f64 v[20:21], v[22:23], v[101:102]
	s_waitcnt vmcnt(8)
	v_mul_f64 v[80:81], v[14:15], v[114:115]
	ds_read2_b64 v[94:97], v148 offset0:51 offset1:114
	v_mul_f64 v[64:65], v[54:55], v[101:102]
	v_fma_f64 v[52:53], v[52:53], v[92:93], -v[58:59]
	s_waitcnt lgkmcnt(1)
	v_mul_f64 v[58:59], v[24:25], v[110:111]
	v_mul_f64 v[78:79], v[26:27], v[114:115]
	s_waitcnt vmcnt(7) lgkmcnt(0)
	v_mul_f64 v[86:87], v[94:95], v[118:119]
	v_fma_f64 v[56:57], v[54:55], v[99:100], -v[20:21]
	v_mul_f64 v[92:93], v[8:9], v[118:119]
	v_fma_f64 v[54:55], v[24:25], v[108:109], -v[76:77]
	v_fma_f64 v[20:21], v[26:27], v[112:113], -v[80:81]
	ds_read2_b64 v[24:27], v148 offset0:177 offset1:240
	v_fma_f64 v[22:23], v[22:23], v[99:100], v[64:65]
	v_fma_f64 v[64:65], v[12:13], v[108:109], v[58:59]
	;; [unrolled: 1-line block ×4, first 2 shown]
	s_waitcnt vmcnt(5) lgkmcnt(0)
	v_mul_f64 v[78:79], v[24:25], v[132:133]
	v_fma_f64 v[14:15], v[94:95], v[116:117], -v[92:93]
	ds_read_b64 v[86:87], v143 offset:11592
	ds_read_b64 v[116:117], v145
	ds_read_b64 v[120:121], v144
	;; [unrolled: 1-line block ×5, first 2 shown]
	s_waitcnt vmcnt(3)
	v_mul_f64 v[100:101], v[26:27], v[156:157]
	s_waitcnt lgkmcnt(5)
	v_mul_f64 v[80:81], v[86:87], v[136:137]
	v_fma_f64 v[78:79], v[0:1], v[130:131], v[78:79]
	v_mul_f64 v[0:1], v[0:1], v[132:133]
	s_waitcnt vmcnt(2) lgkmcnt(1)
	v_mul_f64 v[90:91], v[102:103], v[160:161]
	v_mul_f64 v[8:9], v[96:97], v[128:129]
	v_mul_f64 v[92:93], v[10:11], v[128:129]
	v_fma_f64 v[128:129], v[2:3], v[154:155], v[100:101]
	v_fma_f64 v[80:81], v[48:49], v[134:135], v[80:81]
	v_mul_f64 v[48:49], v[48:49], v[136:137]
	v_mul_f64 v[2:3], v[2:3], v[156:157]
	v_fma_f64 v[100:101], v[24:25], v[130:131], -v[0:1]
	v_fma_f64 v[132:133], v[46:47], v[158:159], v[90:91]
	v_mul_f64 v[24:25], v[46:47], v[160:161]
	v_fma_f64 v[76:77], v[10:11], v[126:127], v[8:9]
	ds_read2_b64 v[8:11], v150 offset0:43 offset1:106
	v_fma_f64 v[98:99], v[96:97], v[126:127], -v[92:93]
	v_add_f64 v[0:1], v[78:79], v[80:81]
	v_fma_f64 v[96:97], v[86:87], v[134:135], -v[48:49]
	s_waitcnt vmcnt(1)
	v_mul_f64 v[46:47], v[4:5], v[164:165]
	s_waitcnt lgkmcnt(0)
	v_mul_f64 v[92:93], v[8:9], v[164:165]
	s_waitcnt vmcnt(0)
	v_mul_f64 v[48:49], v[10:11], v[168:169]
	v_mul_f64 v[86:87], v[6:7], v[168:169]
	v_fma_f64 v[126:127], v[26:27], v[154:155], -v[2:3]
	v_add_f64 v[90:91], v[132:133], v[128:129]
	v_fma_f64 v[136:137], v[102:103], v[158:159], -v[24:25]
	v_fma_f64 v[2:3], v[0:1], -0.5, v[30:31]
	v_add_f64 v[26:27], v[100:101], -v[96:97]
	v_fma_f64 v[110:111], v[4:5], v[162:163], v[92:93]
	v_fma_f64 v[102:103], v[8:9], v[162:163], -v[46:47]
	v_add_f64 v[4:5], v[44:45], v[132:133]
	v_fma_f64 v[112:113], v[6:7], v[166:167], v[48:49]
	v_fma_f64 v[104:105], v[10:11], v[166:167], -v[86:87]
	v_fma_f64 v[6:7], v[90:91], -0.5, v[44:45]
	v_add_f64 v[8:9], v[136:137], -v[126:127]
	v_add_f64 v[10:11], v[66:67], v[74:75]
	v_fma_f64 v[0:1], v[26:27], s[4:5], v[2:3]
	v_fma_f64 v[2:3], v[26:27], s[6:7], v[2:3]
	v_add_f64 v[4:5], v[4:5], v[128:129]
	v_add_f64 v[26:27], v[70:71], -v[60:61]
	ds_read_b64 v[134:135], v89
	ds_read_b64 v[130:131], v84
	;; [unrolled: 1-line block ×4, first 2 shown]
	s_waitcnt lgkmcnt(0)
	v_fma_f64 v[24:25], v[8:9], s[4:5], v[6:7]
	v_fma_f64 v[6:7], v[8:9], s[6:7], v[6:7]
	v_fma_f64 v[8:9], v[10:11], -0.5, v[42:43]
	v_add_f64 v[10:11], v[42:43], v[66:67]
	v_add_f64 v[42:43], v[62:63], v[72:73]
	; wave barrier
	ds_write2_b64 v143, v[4:5], v[24:25] offset1:72
	ds_write_b64 v143, v[6:7] offset:1152
	v_add_f64 v[24:25], v[40:41], v[62:63]
	v_fma_f64 v[6:7], v[26:27], s[4:5], v[8:9]
	v_add_f64 v[4:5], v[10:11], v[74:75]
	v_fma_f64 v[8:9], v[26:27], s[6:7], v[8:9]
	v_fma_f64 v[10:11], v[42:43], -0.5, v[40:41]
	v_add_f64 v[26:27], v[68:69], -v[16:17]
	v_add_f64 v[40:41], v[18:19], v[64:65]
	v_mov_b32_e32 v44, 0x6c0
	v_cndmask_b32_e64 v42, 0, v44, s[0:1]
	v_lshlrev_b32_e32 v43, 3, v82
	v_add3_u32 v154, 0, v42, v43
	ds_write2_b64 v154, v[4:5], v[6:7] offset1:72
	ds_write_b64 v154, v[8:9] offset:1152
	v_add_f64 v[4:5], v[24:25], v[72:73]
	v_fma_f64 v[6:7], v[26:27], s[4:5], v[10:11]
	v_fma_f64 v[8:9], v[26:27], s[6:7], v[10:11]
	v_fma_f64 v[10:11], v[40:41], -0.5, v[38:39]
	v_add_f64 v[24:25], v[38:39], v[18:19]
	v_add_f64 v[26:27], v[52:53], -v[54:55]
	v_mul_u32_u24_e32 v38, 0x6c0, v28
	v_lshlrev_b32_sdwa v39, v51, v29 dst_sel:DWORD dst_unused:UNUSED_PAD src0_sel:DWORD src1_sel:BYTE_0
	v_add_f64 v[28:29], v[22:23], v[58:59]
	v_add3_u32 v155, 0, v38, v39
	ds_write2_b64 v155, v[4:5], v[6:7] offset1:72
	ds_write_b64 v155, v[8:9] offset:1152
	v_lshlrev_b32_sdwa v38, v51, v170 dst_sel:DWORD dst_unused:UNUSED_PAD src0_sel:DWORD src1_sel:BYTE_0
	v_add_f64 v[4:5], v[24:25], v[64:65]
	v_fma_f64 v[6:7], v[26:27], s[4:5], v[10:11]
	v_fma_f64 v[8:9], v[26:27], s[6:7], v[10:11]
	v_add_f64 v[24:25], v[36:37], v[22:23]
	v_fma_f64 v[10:11], v[28:29], -0.5, v[36:37]
	v_add_f64 v[26:27], v[56:57], -v[20:21]
	v_mul_u32_u24_e32 v28, 0x6c0, v83
	v_add3_u32 v156, 0, v28, v38
	ds_write2_b64 v156, v[4:5], v[6:7] offset1:72
	ds_write_b64 v156, v[8:9] offset:1152
	v_add_f64 v[4:5], v[12:13], v[110:111]
	v_add_f64 v[6:7], v[24:25], v[58:59]
	;; [unrolled: 1-line block ×3, first 2 shown]
	v_fma_f64 v[8:9], v[26:27], s[4:5], v[10:11]
	v_fma_f64 v[10:11], v[26:27], s[6:7], v[10:11]
	v_mul_u32_u24_e32 v28, 0x6c0, v171
	v_lshlrev_b32_e32 v26, 3, v172
	v_add3_u32 v157, 0, v28, v26
	v_fma_f64 v[4:5], v[4:5], -0.5, v[34:35]
	v_add_f64 v[26:27], v[34:35], v[12:13]
	v_add_f64 v[28:29], v[14:15], -v[102:103]
	ds_write2_b64 v157, v[6:7], v[8:9] offset1:72
	ds_write_b64 v157, v[10:11] offset:1152
	v_fma_f64 v[6:7], v[24:25], -0.5, v[32:33]
	v_add_f64 v[8:9], v[98:99], -v[104:105]
	v_add_f64 v[10:11], v[32:33], v[76:77]
	v_add_f64 v[30:31], v[30:31], v[78:79]
	v_mul_u32_u24_e32 v34, 0x6c0, v50
	v_add_f64 v[24:25], v[26:27], v[110:111]
	v_fma_f64 v[26:27], v[28:29], s[4:5], v[4:5]
	v_fma_f64 v[4:5], v[28:29], s[6:7], v[4:5]
	v_lshlrev_b32_e32 v28, 3, v173
	v_add3_u32 v158, 0, v34, v28
	v_fma_f64 v[28:29], v[8:9], s[4:5], v[6:7]
	v_add_f64 v[10:11], v[10:11], v[112:113]
	v_add_f64 v[108:109], v[30:31], v[80:81]
	v_fma_f64 v[6:7], v[8:9], s[6:7], v[6:7]
	v_lshl_add_u32 v161, v176, 3, 0
	ds_write_b64 v158, v[4:5] offset:1152
	v_mul_u32_u24_e32 v4, 0x6c0, v174
	v_lshlrev_b32_e32 v5, 3, v175
	v_add3_u32 v160, 0, v4, v5
	v_add_u32_e32 v162, 0x2800, v161
	ds_write2_b64 v158, v[24:25], v[26:27] offset1:72
	ds_write2_b64 v160, v[10:11], v[28:29] offset1:72
	ds_write_b64 v160, v[6:7] offset:1152
	ds_write2_b64 v162, v[108:109], v[0:1] offset0:16 offset1:88
	ds_write_b64 v161, v[2:3] offset:11520
	s_waitcnt lgkmcnt(0)
	; wave barrier
	s_waitcnt lgkmcnt(0)
	ds_read2_b64 v[24:27], v143 offset1:216
	v_add_u32_e32 v159, 0x800, v143
	ds_read_b64 v[48:49], v145
	ds_read_b64 v[114:115], v144
	ds_read_b64 v[50:51], v143 offset:11376
	ds_read2_b64 v[40:43], v159 offset0:176 offset1:239
	ds_read2_b64 v[36:39], v153 offset0:46 offset1:136
	;; [unrolled: 1-line block ×8, first 2 shown]
	v_sub_u32_e32 v4, 0, v152
	v_add_u32_e32 v151, v151, v4
	v_cmp_gt_u32_e64 s[0:1], 27, v138
                                        ; implicit-def: $vgpr10_vgpr11
                                        ; implicit-def: $vgpr6_vgpr7
	s_and_saveexec_b64 s[10:11], s[0:1]
	s_cbranch_execz .LBB0_15
; %bb.14:
	v_add_u32_e32 v0, 0xc00, v143
	v_add_u32_e32 v4, 0x1a00, v143
	v_add_u32_e32 v8, 0x2700, v143
	ds_read_b64 v[108:109], v151
	ds_read2_b64 v[0:3], v0 offset0:21 offset1:237
	ds_read2_b64 v[4:7], v4 offset0:5 offset1:221
	;; [unrolled: 1-line block ×3, first 2 shown]
.LBB0_15:
	s_or_b64 exec, exec, s[10:11]
	v_add_f64 v[163:164], v[136:137], v[126:127]
	v_add_f64 v[165:166], v[70:71], v[60:61]
	;; [unrolled: 1-line block ×3, first 2 shown]
	v_add_f64 v[128:129], v[132:133], -v[128:129]
	v_add_f64 v[70:71], v[120:121], v[70:71]
	v_add_f64 v[66:67], v[66:67], -v[74:75]
	v_add_f64 v[74:75], v[68:69], v[16:17]
	v_add_f64 v[68:69], v[116:117], v[68:69]
	v_fma_f64 v[124:125], v[163:164], -0.5, v[124:125]
	v_add_f64 v[62:63], v[62:63], -v[72:73]
	v_add_f64 v[72:73], v[52:53], v[54:55]
	v_add_f64 v[22:23], v[22:23], -v[58:59]
	v_add_f64 v[60:61], v[70:71], v[60:61]
	v_add_f64 v[52:53], v[134:135], v[52:53]
	v_fma_f64 v[70:71], v[74:75], -0.5, v[116:117]
	v_add_f64 v[16:17], v[68:69], v[16:17]
	v_fma_f64 v[74:75], v[128:129], s[6:7], v[124:125]
	v_fma_f64 v[116:117], v[128:129], s[4:5], v[124:125]
	v_add_f64 v[128:129], v[56:57], v[20:21]
	v_add_f64 v[56:57], v[130:131], v[56:57]
	v_fma_f64 v[72:73], v[72:73], -0.5, v[134:135]
	v_add_f64 v[18:19], v[18:19], -v[64:65]
	v_fma_f64 v[64:65], v[62:63], s[6:7], v[70:71]
	v_fma_f64 v[58:59], v[62:63], s[4:5], v[70:71]
	v_add_f64 v[62:63], v[14:15], v[102:103]
	v_fma_f64 v[120:121], v[165:166], -0.5, v[120:121]
	v_fma_f64 v[68:69], v[128:129], -0.5, v[130:131]
	v_add_f64 v[20:21], v[56:57], v[20:21]
	v_add_f64 v[56:57], v[98:99], v[104:105]
	;; [unrolled: 1-line block ×3, first 2 shown]
	v_fma_f64 v[54:55], v[18:19], s[6:7], v[72:73]
	v_fma_f64 v[18:19], v[18:19], s[4:5], v[72:73]
	v_add_f64 v[14:15], v[122:123], v[14:15]
	v_fma_f64 v[62:63], v[62:63], -0.5, v[122:123]
	v_fma_f64 v[70:71], v[22:23], s[6:7], v[68:69]
	v_fma_f64 v[22:23], v[22:23], s[4:5], v[68:69]
	v_add_f64 v[68:69], v[100:101], v[96:97]
	v_add_f64 v[12:13], v[12:13], -v[110:111]
	v_add_f64 v[72:73], v[118:119], v[98:99]
	v_fma_f64 v[56:57], v[56:57], -0.5, v[118:119]
	v_add_f64 v[76:77], v[76:77], -v[112:113]
	v_add_f64 v[126:127], v[136:137], v[126:127]
	v_add_f64 v[98:99], v[94:95], v[100:101]
	v_add_f64 v[78:79], v[78:79], -v[80:81]
	v_fma_f64 v[68:69], v[68:69], -0.5, v[94:95]
	v_fma_f64 v[124:125], v[66:67], s[6:7], v[120:121]
	v_fma_f64 v[66:67], v[66:67], s[4:5], v[120:121]
	v_add_f64 v[80:81], v[14:15], v[102:103]
	v_fma_f64 v[94:95], v[12:13], s[6:7], v[62:63]
	v_fma_f64 v[62:63], v[12:13], s[4:5], v[62:63]
	v_add_f64 v[72:73], v[72:73], v[104:105]
	;; [unrolled: 3-line block ×3, first 2 shown]
	v_fma_f64 v[12:13], v[78:79], s[6:7], v[68:69]
	v_fma_f64 v[14:15], v[78:79], s[4:5], v[68:69]
	s_waitcnt lgkmcnt(0)
	; wave barrier
	s_waitcnt lgkmcnt(0)
	ds_write2_b64 v143, v[126:127], v[74:75] offset1:72
	ds_write_b64 v143, v[116:117] offset:1152
	ds_write2_b64 v154, v[60:61], v[124:125] offset1:72
	ds_write_b64 v154, v[66:67] offset:1152
	ds_write2_b64 v155, v[16:17], v[64:65] offset1:72
	ds_write_b64 v155, v[58:59] offset:1152
	ds_write2_b64 v156, v[52:53], v[54:55] offset1:72
	ds_write_b64 v156, v[18:19] offset:1152
	ds_write2_b64 v157, v[20:21], v[70:71] offset1:72
	ds_write_b64 v157, v[22:23] offset:1152
	ds_write2_b64 v158, v[80:81], v[94:95] offset1:72
	ds_write_b64 v158, v[62:63] offset:1152
	ds_write2_b64 v160, v[72:73], v[100:101] offset1:72
	ds_write_b64 v160, v[56:57] offset:1152
	ds_write2_b64 v162, v[110:111], v[12:13] offset0:16 offset1:88
	ds_write_b64 v161, v[14:15] offset:11520
	s_waitcnt lgkmcnt(0)
	; wave barrier
	s_waitcnt lgkmcnt(0)
	ds_read2_b64 v[56:59], v143 offset1:216
	ds_read2_b64 v[70:73], v159 offset0:176 offset1:239
	ds_read2_b64 v[62:65], v153 offset0:46 offset1:136
	;; [unrolled: 1-line block ×8, first 2 shown]
	ds_read_b64 v[52:53], v145
	ds_read_b64 v[116:117], v144
	ds_read_b64 v[54:55], v143 offset:11376
                                        ; implicit-def: $vgpr22_vgpr23
                                        ; implicit-def: $vgpr18_vgpr19
	s_and_saveexec_b64 s[4:5], s[0:1]
	s_cbranch_execz .LBB0_17
; %bb.16:
	v_add_u32_e32 v12, 0xc00, v143
	v_add_u32_e32 v16, 0x1a00, v143
	;; [unrolled: 1-line block ×3, first 2 shown]
	ds_read_b64 v[110:111], v151
	ds_read2_b64 v[12:15], v12 offset0:21 offset1:237
	ds_read2_b64 v[16:19], v16 offset0:5 offset1:221
	;; [unrolled: 1-line block ×3, first 2 shown]
.LBB0_17:
	s_or_b64 exec, exec, s[4:5]
	s_and_saveexec_b64 s[4:5], vcc
	s_cbranch_execz .LBB0_20
; %bb.18:
	v_mul_i32_i24_e32 v112, 6, v141
	v_mov_b32_e32 v113, 0
	v_lshlrev_b64 v[60:61], 4, v[112:113]
	v_mov_b32_e32 v141, s9
	v_add_co_u32_e32 v60, vcc, s8, v60
	v_addc_co_u32_e32 v61, vcc, v141, v61, vcc
	global_load_dwordx4 v[118:121], v[60:61], off offset:3424
	global_load_dwordx4 v[122:125], v[60:61], off offset:3504
	;; [unrolled: 1-line block ×6, first 2 shown]
	v_mul_i32_i24_e32 v112, 6, v142
	v_lshlrev_b64 v[60:61], 4, v[112:113]
	s_mov_b32 s22, 0xe976ee23
	v_add_co_u32_e32 v60, vcc, s8, v60
	v_addc_co_u32_e32 v61, vcc, v141, v61, vcc
	global_load_dwordx4 v[147:150], v[60:61], off offset:3472
	global_load_dwordx4 v[151:154], v[60:61], off offset:3456
	;; [unrolled: 1-line block ×6, first 2 shown]
	s_mov_b32 s20, 0x36b3c0b5
	s_mov_b32 s16, 0x429ad128
	;; [unrolled: 1-line block ×19, first 2 shown]
	v_add_u32_e32 v112, 0x1b0, v138
	s_waitcnt vmcnt(11) lgkmcnt(5)
	v_mul_f64 v[60:61], v[104:105], v[120:121]
	s_waitcnt vmcnt(10) lgkmcnt(0)
	v_mul_f64 v[141:142], v[54:55], v[124:125]
	s_waitcnt vmcnt(9)
	v_mul_f64 v[171:172], v[74:75], v[128:129]
	s_waitcnt vmcnt(8)
	;; [unrolled: 2-line block ×4, first 2 shown]
	v_mul_f64 v[177:178], v[100:101], v[145:146]
	v_mul_f64 v[124:125], v[50:51], v[124:125]
	;; [unrolled: 1-line block ×7, first 2 shown]
	v_fma_f64 v[60:61], v[88:89], v[118:119], v[60:61]
	v_fma_f64 v[50:51], v[50:51], v[122:123], v[141:142]
	;; [unrolled: 1-line block ×6, first 2 shown]
	v_fma_f64 v[54:55], v[54:55], v[122:123], -v[124:125]
	v_fma_f64 v[92:93], v[104:105], v[118:119], -v[120:121]
	;; [unrolled: 1-line block ×6, first 2 shown]
	v_add_f64 v[120:121], v[60:61], -v[50:51]
	v_add_f64 v[122:123], v[44:45], -v[84:85]
	;; [unrolled: 1-line block ×3, first 2 shown]
	v_add_f64 v[50:51], v[60:61], v[50:51]
	v_add_f64 v[36:37], v[36:37], v[88:89]
	;; [unrolled: 1-line block ×6, first 2 shown]
	v_add_f64 v[54:55], v[92:93], -v[54:55]
	v_add_f64 v[60:61], v[74:75], -v[96:97]
	;; [unrolled: 1-line block ×5, first 2 shown]
	v_add_f64 v[88:89], v[122:123], v[124:125]
	v_add_f64 v[122:123], v[50:51], v[36:37]
	v_add_f64 v[134:135], v[44:45], -v[36:37]
	v_add_f64 v[124:125], v[124:125], -v[120:121]
	;; [unrolled: 1-line block ×5, first 2 shown]
	v_add_f64 v[60:61], v[60:61], v[62:63]
	v_add_f64 v[92:93], v[126:127], v[128:129]
	;; [unrolled: 1-line block ×3, first 2 shown]
	v_add_f64 v[96:97], v[126:127], -v[130:131]
	v_add_f64 v[100:101], v[130:131], -v[128:129]
	;; [unrolled: 1-line block ×3, first 2 shown]
	v_mul_f64 v[84:85], v[84:85], s[22:23]
	v_mul_f64 v[128:129], v[134:135], s[20:21]
	v_mul_f64 v[134:135], v[124:125], s[16:17]
	v_add_f64 v[36:37], v[36:37], -v[50:51]
	v_add_f64 v[50:51], v[62:63], -v[54:55]
	v_mul_f64 v[122:123], v[132:133], s[26:27]
	v_add_f64 v[54:55], v[54:55], v[60:61]
	v_add_f64 v[60:61], v[48:49], v[44:45]
	;; [unrolled: 1-line block ×4, first 2 shown]
	v_mul_f64 v[100:101], v[100:101], s[20:21]
	v_mul_f64 v[130:131], v[141:142], s[22:23]
	v_fma_f64 v[143:144], v[74:75], s[10:11], v[84:85]
	v_fma_f64 v[74:75], v[74:75], s[14:15], -v[134:135]
	v_fma_f64 v[84:85], v[124:125], s[16:17], -v[84:85]
	;; [unrolled: 1-line block ×4, first 2 shown]
	v_fma_f64 v[44:45], v[44:45], s[6:7], v[60:61]
	s_waitcnt vmcnt(2)
	v_mul_f64 v[104:105], v[98:99], v[161:162]
	v_mul_f64 v[120:121], v[96:97], s[26:27]
	;; [unrolled: 1-line block ×3, first 2 shown]
	v_add_f64 v[62:63], v[52:53], v[92:93]
	v_fma_f64 v[52:53], v[96:97], s[26:27], v[100:101]
	v_fma_f64 v[96:97], v[136:137], s[10:11], v[130:131]
	v_fma_f64 v[50:51], v[50:51], s[16:17], -v[130:131]
	v_fma_f64 v[130:131], v[88:89], s[4:5], v[143:144]
	v_fma_f64 v[74:75], v[88:89], s[4:5], v[74:75]
	;; [unrolled: 1-line block ×3, first 2 shown]
	s_waitcnt vmcnt(0)
	v_mul_f64 v[88:89], v[86:87], v[169:170]
	v_add_f64 v[173:174], v[36:37], v[44:45]
	v_mul_f64 v[36:37], v[102:103], v[169:170]
	v_mul_f64 v[183:184], v[72:73], v[157:158]
	v_mul_f64 v[118:119], v[34:35], v[165:166]
	v_fma_f64 v[120:121], v[126:127], s[18:19], -v[120:121]
	v_fma_f64 v[100:101], v[126:127], s[24:25], -v[100:101]
	v_fma_f64 v[92:93], v[92:93], s[6:7], v[62:63]
	v_fma_f64 v[134:135], v[54:55], s[4:5], v[96:97]
	v_mul_f64 v[96:97], v[80:81], v[165:166]
	v_fma_f64 v[104:105], v[90:91], v[159:160], v[104:105]
	v_fma_f64 v[177:178], v[102:103], v[167:168], -v[88:89]
	v_mul_f64 v[88:89], v[90:91], v[161:162]
	v_mul_f64 v[90:91], v[42:43], v[157:158]
	v_fma_f64 v[86:87], v[86:87], v[167:168], v[36:37]
	v_mul_u32_u24_e32 v36, 6, v138
	v_lshlrev_b32_e32 v36, 4, v36
	v_fma_f64 v[48:49], v[132:133], s[26:27], v[128:129]
	v_fma_f64 v[132:133], v[136:137], s[14:15], -v[141:142]
	v_add_f64 v[136:137], v[52:53], v[92:93]
	v_add_f64 v[143:144], v[120:121], v[92:93]
	;; [unrolled: 1-line block ×4, first 2 shown]
	v_fma_f64 v[175:176], v[42:43], v[155:156], v[183:184]
	v_fma_f64 v[80:81], v[80:81], v[163:164], -v[118:119]
	v_fma_f64 v[157:158], v[34:35], v[163:164], v[96:97]
	v_fma_f64 v[159:160], v[98:99], v[159:160], -v[88:89]
	v_fma_f64 v[155:156], v[72:73], v[155:156], -v[90:91]
	global_load_dwordx4 v[88:91], v36, s[8:9] offset:3440
	global_load_dwordx4 v[96:99], v36, s[8:9] offset:3424
	;; [unrolled: 1-line block ×6, first 2 shown]
	v_mul_f64 v[179:180], v[68:69], v[149:150]
	v_mul_f64 v[181:182], v[94:95], v[153:154]
	;; [unrolled: 1-line block ×3, first 2 shown]
	v_add_f64 v[163:164], v[175:176], -v[104:105]
	v_add_f64 v[167:168], v[177:178], v[80:81]
	v_add_f64 v[104:105], v[175:176], v[104:105]
	v_fma_f64 v[132:133], v[54:55], s[4:5], v[132:133]
	v_add_f64 v[141:142], v[48:49], v[44:45]
	v_fma_f64 v[165:166], v[30:31], v[147:148], v[179:180]
	v_mul_f64 v[30:31], v[30:31], v[149:150]
	v_fma_f64 v[169:170], v[82:83], v[151:152], v[181:182]
	v_add_f64 v[82:83], v[155:156], v[159:160]
	v_fma_f64 v[94:95], v[94:95], v[151:152], -v[34:35]
	v_add_f64 v[44:45], v[92:93], -v[84:85]
	v_add_f64 v[36:37], v[84:85], v[92:93]
	v_add_f64 v[84:85], v[86:87], -v[157:158]
	v_add_f64 v[52:53], v[145:146], -v[132:133]
	v_fma_f64 v[30:31], v[68:69], v[147:148], -v[30:31]
	v_add_f64 v[68:69], v[86:87], v[157:158]
	v_add_f64 v[86:87], v[167:168], v[82:83]
	;; [unrolled: 1-line block ×4, first 2 shown]
	v_add_f64 v[145:146], v[155:156], -v[159:160]
	v_add_f64 v[80:81], v[177:178], -v[80:81]
	;; [unrolled: 1-line block ×3, first 2 shown]
	v_add_f64 v[92:93], v[30:31], v[94:95]
	v_add_f64 v[147:148], v[68:69], v[104:105]
	v_add_f64 v[30:31], v[30:31], -v[94:95]
	v_add_f64 v[155:156], v[149:150], -v[104:105]
	v_fma_f64 v[171:172], v[54:55], s[4:5], v[50:51]
	v_add_f64 v[54:55], v[74:75], v[143:144]
	v_add_f64 v[74:75], v[143:144], -v[74:75]
	v_add_f64 v[143:144], v[161:162], -v[163:164]
	v_add_f64 v[86:87], v[92:93], v[86:87]
	v_add_f64 v[147:148], v[149:150], v[147:148]
	v_add_f64 v[151:152], v[92:93], -v[82:83]
	v_add_f64 v[157:158], v[30:31], -v[145:146]
	v_add_f64 v[50:51], v[130:131], v[136:137]
	v_add_f64 v[132:133], v[84:85], -v[161:162]
	v_add_f64 v[153:154], v[161:162], v[163:164]
	v_mul_f64 v[143:144], v[143:144], s[22:23]
	v_add_f64 v[94:95], v[116:117], v[86:87]
	v_add_f64 v[116:117], v[167:168], -v[92:93]
	v_add_f64 v[92:93], v[114:115], v[147:148]
	v_add_f64 v[114:115], v[68:69], -v[149:150]
	v_mul_f64 v[149:150], v[155:156], s[20:21]
	v_add_f64 v[155:156], v[80:81], -v[30:31]
	v_add_f64 v[30:31], v[30:31], v[145:146]
	v_add_f64 v[145:146], v[145:146], -v[80:81]
	v_mul_f64 v[157:158], v[157:158], s[22:23]
	v_add_f64 v[68:69], v[104:105], -v[68:69]
	v_fma_f64 v[147:148], v[147:148], s[6:7], v[92:93]
	v_add_f64 v[163:164], v[163:164], -v[84:85]
	v_fma_f64 v[165:166], v[114:115], s[26:27], v[149:150]
	v_mul_f64 v[114:115], v[114:115], s[26:27]
	v_add_f64 v[30:31], v[80:81], v[30:31]
	v_mul_f64 v[104:105], v[145:146], s[16:17]
	v_fma_f64 v[169:170], v[155:156], s[10:11], v[157:158]
	v_add_f64 v[167:168], v[82:83], -v[167:168]
	v_add_f64 v[82:83], v[136:137], -v[130:131]
	v_fma_f64 v[136:137], v[145:146], s[16:17], -v[157:158]
	v_add_f64 v[48:49], v[141:142], -v[134:135]
	v_fma_f64 v[114:115], v[68:69], s[18:19], -v[114:115]
	v_fma_f64 v[68:69], v[68:69], s[24:25], -v[149:150]
	;; [unrolled: 1-line block ×3, first 2 shown]
	v_fma_f64 v[159:160], v[132:133], s[10:11], v[143:144]
	v_add_f64 v[165:166], v[165:166], v[147:148]
	v_fma_f64 v[169:170], v[30:31], s[4:5], v[169:170]
	v_add_f64 v[80:81], v[134:135], v[141:142]
	v_fma_f64 v[134:135], v[163:164], s[16:17], -v[143:144]
	v_add_f64 v[114:115], v[114:115], v[147:148]
	v_add_f64 v[68:69], v[68:69], v[147:148]
	v_fma_f64 v[104:105], v[30:31], s[4:5], v[104:105]
	v_fma_f64 v[136:137], v[30:31], s[4:5], v[136:137]
	s_waitcnt vmcnt(5)
	v_mul_f64 v[147:148], v[70:71], v[90:91]
	s_waitcnt vmcnt(4)
	v_mul_f64 v[30:31], v[58:59], v[98:99]
	;; [unrolled: 2-line block ×6, first 2 shown]
	v_mul_f64 v[102:103], v[32:33], v[102:103]
	v_mul_f64 v[98:99], v[26:27], v[98:99]
	;; [unrolled: 1-line block ×4, first 2 shown]
	v_fma_f64 v[40:41], v[40:41], v[88:89], v[147:148]
	v_fma_f64 v[143:144], v[28:29], v[118:119], v[143:144]
	v_fma_f64 v[145:146], v[38:39], v[122:123], v[145:146]
	v_fma_f64 v[46:47], v[46:47], v[126:127], v[149:150]
	v_fma_f64 v[78:79], v[78:79], v[100:101], -v[102:103]
	v_fma_f64 v[98:99], v[58:59], v[96:97], -v[98:99]
	;; [unrolled: 1-line block ×4, first 2 shown]
	v_mul_f64 v[38:39], v[38:39], v[124:125]
	v_mul_f64 v[28:29], v[28:29], v[120:121]
	;; [unrolled: 1-line block ×3, first 2 shown]
	v_fma_f64 v[76:77], v[26:27], v[96:97], v[30:31]
	v_fma_f64 v[88:89], v[32:33], v[100:101], v[141:142]
	v_add_f64 v[90:91], v[143:144], -v[145:146]
	v_add_f64 v[96:97], v[40:41], -v[46:47]
	v_add_f64 v[100:101], v[98:99], v[78:79]
	v_add_f64 v[102:103], v[70:71], v[58:59]
	v_fma_f64 v[120:121], v[64:65], v[122:123], -v[38:39]
	v_fma_f64 v[118:119], v[66:67], v[118:119], -v[28:29]
	v_add_f64 v[42:43], v[171:172], v[173:174]
	v_add_f64 v[34:35], v[173:174], -v[171:172]
	v_fma_f64 v[161:162], v[86:87], s[6:7], v[94:95]
	v_fma_f64 v[86:87], v[116:117], s[26:27], v[151:152]
	v_mul_f64 v[116:117], v[116:117], s[26:27]
	v_mul_f64 v[173:174], v[163:164], s[16:17]
	v_add_f64 v[122:123], v[76:77], -v[88:89]
	v_add_f64 v[38:39], v[90:91], -v[96:97]
	v_add_f64 v[64:65], v[100:101], v[102:103]
	v_add_f64 v[124:125], v[118:119], v[120:121]
	;; [unrolled: 1-line block ×5, first 2 shown]
	v_fma_f64 v[130:131], v[132:133], s[14:15], -v[173:174]
	v_fma_f64 v[116:117], v[167:168], s[18:19], -v[116:117]
	v_add_f64 v[26:27], v[114:115], -v[104:105]
	v_add_f64 v[30:31], v[136:137], v[68:69]
	v_mul_f64 v[126:127], v[38:39], s[22:23]
	v_add_f64 v[38:39], v[68:69], -v[136:137]
	v_add_f64 v[68:69], v[124:125], v[64:65]
	v_add_f64 v[64:65], v[104:105], v[114:115]
	;; [unrolled: 1-line block ×4, first 2 shown]
	v_fma_f64 v[130:131], v[153:154], s[4:5], v[130:131]
	v_add_f64 v[116:117], v[116:117], v[161:162]
	v_add_f64 v[118:119], v[118:119], -v[120:121]
	v_add_f64 v[70:71], v[70:71], -v[58:59]
	v_add_f64 v[58:59], v[56:57], v[68:69]
	v_add_f64 v[120:121], v[100:101], -v[124:125]
	v_add_f64 v[56:57], v[124:125], -v[102:103]
	;; [unrolled: 3-line block ×3, first 2 shown]
	v_fma_f64 v[132:133], v[167:168], s[24:25], -v[151:152]
	v_add_f64 v[28:29], v[130:131], v[116:117]
	v_add_f64 v[88:89], v[122:123], -v[90:91]
	v_add_f64 v[66:67], v[116:117], -v[130:131]
	v_add_f64 v[90:91], v[90:91], v[96:97]
	v_add_f64 v[98:99], v[118:119], -v[70:71]
	v_mul_f64 v[130:131], v[56:57], s[20:21]
	v_add_f64 v[56:57], v[24:25], v[104:105]
	v_add_f64 v[24:25], v[76:77], -v[114:115]
	v_mul_f64 v[114:115], v[124:125], s[20:21]
	v_add_f64 v[124:125], v[78:79], -v[118:119]
	v_add_f64 v[118:119], v[118:119], v[70:71]
	v_add_f64 v[96:97], v[96:97], -v[122:123]
	v_add_f64 v[132:133], v[132:133], v[161:162]
	v_fma_f64 v[134:135], v[153:154], s[4:5], v[134:135]
	v_fma_f64 v[116:117], v[88:89], s[10:11], v[126:127]
	v_add_f64 v[90:91], v[122:123], v[90:91]
	v_mul_f64 v[128:129], v[120:121], s[26:27]
	v_mul_f64 v[98:99], v[98:99], s[22:23]
	v_add_f64 v[70:71], v[70:71], -v[78:79]
	v_mul_f64 v[122:123], v[24:25], s[26:27]
	v_add_f64 v[78:79], v[78:79], v[118:119]
	v_mul_f64 v[118:119], v[96:97], s[16:17]
	v_add_f64 v[100:101], v[102:103], -v[100:101]
	v_add_f64 v[46:47], v[46:47], -v[76:77]
	;; [unrolled: 1-line block ×3, first 2 shown]
	v_add_f64 v[40:41], v[134:135], v[132:133]
	v_fma_f64 v[68:69], v[68:69], s[6:7], v[58:59]
	v_fma_f64 v[104:105], v[104:105], s[6:7], v[56:57]
	v_fma_f64 v[24:25], v[24:25], s[26:27], v[114:115]
	v_fma_f64 v[132:133], v[124:125], s[10:11], v[98:99]
	v_mul_f64 v[76:77], v[70:71], s[16:17]
	v_fma_f64 v[134:135], v[90:91], s[4:5], v[116:117]
	v_fma_f64 v[88:89], v[88:89], s[14:15], -v[118:119]
	v_fma_f64 v[102:103], v[100:101], s[18:19], -v[128:129]
	;; [unrolled: 1-line block ×7, first 2 shown]
	v_add_f64 v[24:25], v[24:25], v[104:105]
	v_fma_f64 v[132:133], v[78:79], s[4:5], v[132:133]
	v_fma_f64 v[76:77], v[124:125], s[14:15], -v[76:77]
	v_fma_f64 v[114:115], v[90:91], s[4:5], v[88:89]
	v_add_f64 v[118:119], v[102:103], v[68:69]
	v_add_f64 v[122:123], v[116:117], v[104:105]
	;; [unrolled: 1-line block ×3, first 2 shown]
	v_fma_f64 v[102:103], v[90:91], s[4:5], v[96:97]
	v_add_f64 v[46:47], v[46:47], v[104:105]
	v_fma_f64 v[104:105], v[78:79], s[4:5], v[70:71]
	v_fma_f64 v[120:121], v[120:121], s[26:27], v[130:131]
	v_mad_u64_u32 v[126:127], s[28:29], s2, v138, 0
	v_fma_f64 v[124:125], v[78:79], s[4:5], v[76:77]
	v_add_f64 v[76:77], v[24:25], -v[132:133]
	v_add_f64 v[90:91], v[114:115], v[118:119]
	v_add_f64 v[98:99], v[100:101], -v[102:103]
	v_add_f64 v[96:97], v[104:105], v[46:47]
	v_add_f64 v[102:103], v[102:103], v[100:101]
	v_add_f64 v[100:101], v[46:47], -v[104:105]
	v_add_f64 v[116:117], v[118:119], -v[114:115]
	v_mov_b32_e32 v46, v127
	v_add_f64 v[118:119], v[132:133], v[24:25]
	v_add_co_u32_e32 v24, vcc, s12, v106
	v_add_u32_e32 v106, 0xd8, v138
	v_mad_u64_u32 v[46:47], s[28:29], s3, v138, v[46:47]
	v_mov_b32_e32 v25, s13
	v_mad_u64_u32 v[104:105], s[12:13], s2, v106, 0
	v_add_f64 v[120:121], v[120:121], v[68:69]
	v_mov_b32_e32 v127, v46
	v_mad_u64_u32 v[105:106], s[12:13], s3, v106, v[105:106]
	v_addc_co_u32_e32 v25, vcc, v25, v107, vcc
	v_lshlrev_b64 v[46:47], 4, v[126:127]
	v_mad_u64_u32 v[106:107], s[12:13], s2, v112, 0
	v_add_co_u32_e32 v46, vcc, v24, v46
	v_addc_co_u32_e32 v47, vcc, v25, v47, vcc
	global_store_dwordx4 v[46:47], v[56:59], off
	v_add_f64 v[78:79], v[134:135], v[120:121]
	v_mov_b32_e32 v56, v107
	v_mad_u64_u32 v[56:57], s[12:13], s3, v112, v[56:57]
	v_add_f64 v[120:121], v[120:121], -v[134:135]
	v_add_u32_e32 v58, 0x288, v138
	v_mov_b32_e32 v107, v56
	v_mad_u64_u32 v[56:57], s[12:13], s2, v58, 0
	v_add_f64 v[114:115], v[124:125], v[122:123]
	v_lshlrev_b64 v[46:47], 4, v[104:105]
	v_mad_u64_u32 v[57:58], s[12:13], s3, v58, v[57:58]
	v_add_co_u32_e32 v46, vcc, v24, v46
	v_addc_co_u32_e32 v47, vcc, v25, v47, vcc
	v_add_u32_e32 v104, 0x360, v138
	global_store_dwordx4 v[46:47], v[118:121], off
	v_lshlrev_b64 v[46:47], 4, v[106:107]
	v_mad_u64_u32 v[58:59], s[12:13], s2, v104, 0
	v_add_co_u32_e32 v46, vcc, v24, v46
	v_addc_co_u32_e32 v47, vcc, v25, v47, vcc
	global_store_dwordx4 v[46:47], v[114:117], off
	v_lshlrev_b64 v[46:47], 4, v[56:57]
	v_mov_b32_e32 v56, v59
	v_mad_u64_u32 v[56:57], s[12:13], s3, v104, v[56:57]
	v_add_co_u32_e32 v46, vcc, v24, v46
	v_addc_co_u32_e32 v47, vcc, v25, v47, vcc
	v_mov_b32_e32 v59, v56
	global_store_dwordx4 v[46:47], v[100:103], off
	v_lshlrev_b64 v[46:47], 4, v[58:59]
	v_add_u32_e32 v58, 0x438, v138
	v_mad_u64_u32 v[56:57], s[12:13], s2, v58, 0
	v_add_u32_e32 v100, 0x510, v138
	v_add_co_u32_e32 v46, vcc, v24, v46
	v_mad_u64_u32 v[57:58], s[12:13], s3, v58, v[57:58]
	v_mad_u64_u32 v[58:59], s[12:13], s2, v100, 0
	v_addc_co_u32_e32 v47, vcc, v25, v47, vcc
	global_store_dwordx4 v[46:47], v[96:99], off
	v_lshlrev_b64 v[46:47], 4, v[56:57]
	v_mov_b32_e32 v56, v59
	v_add_f64 v[88:89], v[122:123], -v[124:125]
	v_mad_u64_u32 v[56:57], s[12:13], s3, v100, v[56:57]
	v_add_co_u32_e32 v46, vcc, v24, v46
	v_mov_b32_e32 v59, v56
	v_mad_u64_u32 v[56:57], s[12:13], s2, v140, 0
	v_addc_co_u32_e32 v47, vcc, v25, v47, vcc
	global_store_dwordx4 v[46:47], v[88:91], off
	v_lshlrev_b64 v[46:47], 4, v[58:59]
	v_mad_u64_u32 v[57:58], s[12:13], s3, v140, v[57:58]
	v_add_u32_e32 v88, 0x117, v138
	v_mad_u64_u32 v[58:59], s[12:13], s2, v88, 0
	v_add_co_u32_e32 v46, vcc, v24, v46
	v_addc_co_u32_e32 v47, vcc, v25, v47, vcc
	v_fma_f64 v[159:160], v[153:154], s[4:5], v[159:160]
	v_add_f64 v[171:172], v[86:87], v[161:162]
	global_store_dwordx4 v[46:47], v[76:79], off
	v_lshlrev_b64 v[46:47], 4, v[56:57]
	v_mov_b32_e32 v56, v59
	v_mad_u64_u32 v[56:57], s[12:13], s3, v88, v[56:57]
	v_add_co_u32_e32 v46, vcc, v24, v46
	v_addc_co_u32_e32 v47, vcc, v25, v47, vcc
	v_mov_b32_e32 v59, v56
	global_store_dwordx4 v[46:47], v[92:95], off
	v_lshlrev_b64 v[46:47], 4, v[58:59]
	v_add_u32_e32 v58, 0x1ef, v138
	v_mad_u64_u32 v[56:57], s[12:13], s2, v58, 0
	v_add_f64 v[70:71], v[171:172], -v[159:160]
	v_add_f64 v[68:69], v[169:170], v[165:166]
	v_mad_u64_u32 v[57:58], s[12:13], s3, v58, v[57:58]
	v_add_u32_e32 v76, 0x2c7, v138
	v_mad_u64_u32 v[58:59], s[12:13], s2, v76, 0
	v_add_co_u32_e32 v46, vcc, v24, v46
	v_addc_co_u32_e32 v47, vcc, v25, v47, vcc
	global_store_dwordx4 v[46:47], v[68:71], off
	v_lshlrev_b64 v[46:47], 4, v[56:57]
	v_mov_b32_e32 v56, v59
	v_mad_u64_u32 v[56:57], s[12:13], s3, v76, v[56:57]
	v_add_co_u32_e32 v46, vcc, v24, v46
	v_addc_co_u32_e32 v47, vcc, v25, v47, vcc
	v_mov_b32_e32 v59, v56
	global_store_dwordx4 v[46:47], v[64:67], off
	v_lshlrev_b64 v[46:47], 4, v[58:59]
	v_add_u32_e32 v58, 0x39f, v138
	v_mad_u64_u32 v[56:57], s[12:13], s2, v58, 0
	v_add_u32_e32 v64, 0x477, v138
	v_add_co_u32_e32 v46, vcc, v24, v46
	v_mad_u64_u32 v[57:58], s[12:13], s3, v58, v[57:58]
	v_mad_u64_u32 v[58:59], s[12:13], s2, v64, 0
	v_addc_co_u32_e32 v47, vcc, v25, v47, vcc
	global_store_dwordx4 v[46:47], v[38:41], off
	s_movk_i32 s28, 0x510
	v_lshlrev_b64 v[38:39], 4, v[56:57]
	v_mov_b32_e32 v40, v59
	v_mad_u64_u32 v[40:41], s[12:13], s3, v64, v[40:41]
	v_add_co_u32_e32 v38, vcc, v24, v38
	v_addc_co_u32_e32 v39, vcc, v25, v39, vcc
	global_store_dwordx4 v[38:39], v[30:33], off
	v_add_u32_e32 v38, 0x54f, v138
	v_mov_b32_e32 v59, v40
	v_mad_u64_u32 v[32:33], s[12:13], s2, v38, 0
	v_add_u32_e32 v40, 0x7e, v138
	v_lshrrev_b32_e32 v39, 3, v40
	s_mov_b32 s12, 0x97b425f
	v_mul_hi_u32 v41, v39, s12
	v_mad_u64_u32 v[38:39], s[12:13], s3, v38, v[33:34]
	v_lshlrev_b64 v[30:31], 4, v[58:59]
	v_mad_u32_u24 v41, v41, s28, v40
	v_mad_u64_u32 v[39:40], s[12:13], s2, v41, 0
	v_add_co_u32_e32 v30, vcc, v24, v30
	v_addc_co_u32_e32 v31, vcc, v25, v31, vcc
	global_store_dwordx4 v[30:31], v[26:29], off
	v_add_f64 v[86:87], v[159:160], v[171:172]
	v_mov_b32_e32 v28, v40
	v_mad_u64_u32 v[28:29], s[12:13], s3, v41, v[28:29]
	v_add_f64 v[84:85], v[165:166], -v[169:170]
	v_add_u32_e32 v30, 0xd8, v41
	v_mov_b32_e32 v33, v38
	v_mov_b32_e32 v40, v28
	v_mad_u64_u32 v[28:29], s[12:13], s2, v30, 0
	v_lshlrev_b64 v[26:27], 4, v[32:33]
	v_add_u32_e32 v32, 0x1b0, v41
	v_add_co_u32_e32 v26, vcc, v24, v26
	v_addc_co_u32_e32 v27, vcc, v25, v27, vcc
	v_mad_u64_u32 v[29:30], s[12:13], s3, v30, v[29:30]
	global_store_dwordx4 v[26:27], v[84:87], off
	v_lshlrev_b64 v[26:27], 4, v[39:40]
	v_mad_u64_u32 v[30:31], s[12:13], s2, v32, 0
	v_add_co_u32_e32 v26, vcc, v24, v26
	v_addc_co_u32_e32 v27, vcc, v25, v27, vcc
	global_store_dwordx4 v[26:27], v[60:63], off
	v_lshlrev_b64 v[26:27], 4, v[28:29]
	v_mov_b32_e32 v28, v31
	v_mad_u64_u32 v[28:29], s[12:13], s3, v32, v[28:29]
	v_add_co_u32_e32 v26, vcc, v24, v26
	v_addc_co_u32_e32 v27, vcc, v25, v27, vcc
	v_mov_b32_e32 v31, v28
	global_store_dwordx4 v[26:27], v[80:83], off
	v_lshlrev_b64 v[26:27], 4, v[30:31]
	v_add_u32_e32 v30, 0x288, v41
	v_mad_u64_u32 v[28:29], s[12:13], s2, v30, 0
	v_add_u32_e32 v32, 0x360, v41
	v_add_co_u32_e32 v26, vcc, v24, v26
	v_mad_u64_u32 v[29:30], s[12:13], s3, v30, v[29:30]
	v_mad_u64_u32 v[30:31], s[12:13], s2, v32, 0
	v_addc_co_u32_e32 v27, vcc, v25, v27, vcc
	global_store_dwordx4 v[26:27], v[72:75], off
	v_lshlrev_b64 v[26:27], 4, v[28:29]
	v_mov_b32_e32 v28, v31
	v_mad_u64_u32 v[28:29], s[12:13], s3, v32, v[28:29]
	v_add_co_u32_e32 v26, vcc, v24, v26
	v_addc_co_u32_e32 v27, vcc, v25, v27, vcc
	v_mov_b32_e32 v31, v28
	global_store_dwordx4 v[26:27], v[34:37], off
	v_lshlrev_b64 v[26:27], 4, v[30:31]
	v_add_u32_e32 v30, 0x438, v41
	v_mad_u64_u32 v[28:29], s[12:13], s2, v30, 0
	v_add_u32_e32 v32, 0x510, v41
	v_add_co_u32_e32 v26, vcc, v24, v26
	v_mad_u64_u32 v[29:30], s[12:13], s3, v30, v[29:30]
	v_mad_u64_u32 v[30:31], s[12:13], s2, v32, 0
	v_addc_co_u32_e32 v27, vcc, v25, v27, vcc
	global_store_dwordx4 v[26:27], v[42:45], off
	v_lshlrev_b64 v[26:27], 4, v[28:29]
	v_mov_b32_e32 v28, v31
	v_mad_u64_u32 v[28:29], s[12:13], s3, v32, v[28:29]
	v_add_co_u32_e32 v26, vcc, v24, v26
	v_addc_co_u32_e32 v27, vcc, v25, v27, vcc
	v_mov_b32_e32 v31, v28
	global_store_dwordx4 v[26:27], v[52:55], off
	v_lshlrev_b64 v[26:27], 4, v[30:31]
	v_add_co_u32_e32 v26, vcc, v24, v26
	v_addc_co_u32_e32 v27, vcc, v25, v27, vcc
	global_store_dwordx4 v[26:27], v[48:51], off
	s_and_b64 exec, exec, s[0:1]
	s_cbranch_execz .LBB0_20
; %bb.19:
	v_subrev_u32_e32 v26, 27, v138
	v_cndmask_b32_e64 v26, v26, v139, s[0:1]
	v_mul_i32_i24_e32 v112, 6, v26
	v_lshlrev_b64 v[26:27], 4, v[112:113]
	v_mov_b32_e32 v28, s9
	v_add_co_u32_e32 v50, vcc, s8, v26
	v_addc_co_u32_e32 v51, vcc, v28, v27, vcc
	global_load_dwordx4 v[26:29], v[50:51], off offset:3424
	global_load_dwordx4 v[30:33], v[50:51], off offset:3440
	;; [unrolled: 1-line block ×6, first 2 shown]
	v_add_u32_e32 v56, 0xbd, v138
	v_add_u32_e32 v58, 0x195, v138
	;; [unrolled: 1-line block ×3, first 2 shown]
	v_mad_u64_u32 v[50:51], s[0:1], s2, v56, 0
	v_mad_u64_u32 v[52:53], s[0:1], s2, v58, 0
	;; [unrolled: 1-line block ×6, first 2 shown]
	v_mov_b32_e32 v51, v56
	v_mov_b32_e32 v53, v57
	v_lshlrev_b64 v[50:51], 4, v[50:51]
	v_add_u32_e32 v71, 0x345, v138
	v_add_co_u32_e32 v50, vcc, v24, v50
	v_addc_co_u32_e32 v51, vcc, v25, v51, vcc
	v_mad_u64_u32 v[59:60], s[0:1], s2, v71, 0
	v_lshlrev_b64 v[52:53], 4, v[52:53]
	v_mov_b32_e32 v55, v58
	v_lshlrev_b64 v[54:55], 4, v[54:55]
	s_waitcnt vmcnt(5)
	v_mul_f64 v[56:57], v[12:13], v[28:29]
	v_mul_f64 v[28:29], v[0:1], v[28:29]
	s_waitcnt vmcnt(4)
	v_mul_f64 v[61:62], v[14:15], v[32:33]
	v_mul_f64 v[32:33], v[2:3], v[32:33]
	;; [unrolled: 3-line block ×4, first 2 shown]
	v_mul_f64 v[63:64], v[16:17], v[36:37]
	v_mul_f64 v[36:37], v[4:5], v[36:37]
	v_mul_f64 v[65:66], v[18:19], v[40:41]
	v_mul_f64 v[40:41], v[6:7], v[40:41]
	v_fma_f64 v[0:1], v[0:1], v[26:27], v[56:57]
	v_fma_f64 v[12:13], v[12:13], v[26:27], -v[28:29]
	v_fma_f64 v[2:3], v[2:3], v[30:31], v[61:62]
	v_fma_f64 v[14:15], v[14:15], v[30:31], -v[32:33]
	;; [unrolled: 2-line block ×6, first 2 shown]
	v_add_f64 v[26:27], v[0:1], v[10:11]
	v_add_f64 v[28:29], v[12:13], v[22:23]
	v_add_f64 v[0:1], v[0:1], -v[10:11]
	v_add_f64 v[10:11], v[12:13], -v[22:23]
	v_add_f64 v[12:13], v[2:3], v[8:9]
	v_add_f64 v[22:23], v[14:15], v[20:21]
	v_add_f64 v[2:3], v[2:3], -v[8:9]
	v_add_f64 v[8:9], v[14:15], -v[20:21]
	;; [unrolled: 4-line block ×4, first 2 shown]
	v_add_f64 v[26:27], v[26:27], -v[14:15]
	v_add_f64 v[28:29], v[28:29], -v[20:21]
	;; [unrolled: 1-line block ×4, first 2 shown]
	v_add_f64 v[34:35], v[4:5], v[2:3]
	v_add_f64 v[36:37], v[6:7], v[8:9]
	v_add_f64 v[38:39], v[4:5], -v[2:3]
	v_add_f64 v[40:41], v[6:7], -v[8:9]
	v_add_f64 v[14:15], v[14:15], v[16:17]
	v_add_f64 v[16:17], v[20:21], v[18:19]
	v_add_f64 v[4:5], v[0:1], -v[4:5]
	v_add_f64 v[6:7], v[10:11], -v[6:7]
	;; [unrolled: 1-line block ×4, first 2 shown]
	v_add_f64 v[18:19], v[34:35], v[0:1]
	v_add_f64 v[10:11], v[36:37], v[10:11]
	v_mul_f64 v[20:21], v[26:27], s[26:27]
	v_mul_f64 v[26:27], v[28:29], s[26:27]
	;; [unrolled: 1-line block ×6, first 2 shown]
	v_add_f64 v[0:1], v[108:109], v[14:15]
	v_add_f64 v[2:3], v[110:111], v[16:17]
	v_fma_f64 v[12:13], v[12:13], s[20:21], v[20:21]
	v_fma_f64 v[22:23], v[22:23], s[20:21], v[26:27]
	v_fma_f64 v[28:29], v[30:31], s[24:25], -v[28:29]
	v_fma_f64 v[34:35], v[32:33], s[24:25], -v[34:35]
	;; [unrolled: 1-line block ×4, first 2 shown]
	v_fma_f64 v[30:31], v[4:5], s[10:11], v[36:37]
	v_fma_f64 v[32:33], v[6:7], s[10:11], v[38:39]
	;; [unrolled: 1-line block ×4, first 2 shown]
	v_mul_f64 v[40:41], v[42:43], s[16:17]
	v_mul_f64 v[44:45], v[8:9], s[16:17]
	v_fma_f64 v[36:37], v[42:43], s[16:17], -v[36:37]
	global_store_dwordx4 v[50:51], v[0:3], off
	v_fma_f64 v[30:31], v[18:19], s[4:5], v[30:31]
	v_fma_f64 v[32:33], v[10:11], s[4:5], v[32:33]
	v_add_f64 v[42:43], v[12:13], v[14:15]
	v_add_f64 v[22:23], v[22:23], v[16:17]
	v_fma_f64 v[4:5], v[4:5], s[14:15], -v[40:41]
	v_fma_f64 v[6:7], v[6:7], s[14:15], -v[44:45]
	;; [unrolled: 1-line block ×3, first 2 shown]
	v_fma_f64 v[36:37], v[18:19], s[4:5], v[36:37]
	v_add_f64 v[20:21], v[20:21], v[14:15]
	v_add_f64 v[26:27], v[26:27], v[16:17]
	;; [unrolled: 1-line block ×3, first 2 shown]
	v_add_f64 v[2:3], v[22:23], -v[30:31]
	v_fma_f64 v[18:19], v[18:19], s[4:5], v[4:5]
	v_fma_f64 v[40:41], v[10:11], s[4:5], v[6:7]
	v_add_f64 v[12:13], v[28:29], v[14:15]
	v_add_f64 v[28:29], v[34:35], v[16:17]
	v_add_co_u32_e32 v34, vcc, v24, v52
	v_addc_co_u32_e32 v35, vcc, v25, v53, vcc
	global_store_dwordx4 v[34:35], v[0:3], off
	v_fma_f64 v[38:39], v[10:11], s[4:5], v[8:9]
	v_mov_b32_e32 v2, v60
	v_mad_u64_u32 v[2:3], s[0:1], s3, v71, v[2:3]
	v_add_u32_e32 v3, 0x41d, v138
	v_add_f64 v[4:5], v[40:41], v[20:21]
	v_add_f64 v[6:7], v[26:27], -v[18:19]
	v_add_f64 v[18:19], v[18:19], v[26:27]
	v_mad_u64_u32 v[26:27], s[0:1], s2, v3, 0
	v_mov_b32_e32 v60, v2
	v_add_f64 v[8:9], v[12:13], -v[38:39]
	v_mov_b32_e32 v2, v27
	v_mad_u64_u32 v[2:3], s[0:1], s3, v3, v[2:3]
	v_add_f64 v[10:11], v[36:37], v[28:29]
	v_add_co_u32_e32 v0, vcc, v24, v54
	v_addc_co_u32_e32 v1, vcc, v25, v55, vcc
	global_store_dwordx4 v[0:1], v[4:7], off
	v_mov_b32_e32 v27, v2
	v_add_u32_e32 v4, 0x4f5, v138
	v_mad_u64_u32 v[2:3], s[0:1], s2, v4, 0
	v_add_f64 v[12:13], v[38:39], v[12:13]
	v_add_f64 v[14:15], v[28:29], -v[36:37]
	v_lshlrev_b64 v[0:1], 4, v[59:60]
	v_mad_u64_u32 v[3:4], s[0:1], s3, v4, v[3:4]
	v_add_co_u32_e32 v0, vcc, v24, v0
	v_addc_co_u32_e32 v1, vcc, v25, v1, vcc
	v_add_u32_e32 v6, 0x5cd, v138
	global_store_dwordx4 v[0:1], v[8:11], off
	v_lshlrev_b64 v[0:1], 4, v[26:27]
	v_mad_u64_u32 v[4:5], s[0:1], s2, v6, 0
	v_add_f64 v[16:17], v[20:21], -v[40:41]
	v_add_co_u32_e32 v0, vcc, v24, v0
	v_addc_co_u32_e32 v1, vcc, v25, v1, vcc
	global_store_dwordx4 v[0:1], v[12:15], off
	v_lshlrev_b64 v[0:1], 4, v[2:3]
	v_mov_b32_e32 v2, v5
	v_mad_u64_u32 v[2:3], s[0:1], s3, v6, v[2:3]
	v_add_f64 v[20:21], v[42:43], -v[32:33]
	v_add_f64 v[22:23], v[30:31], v[22:23]
	v_add_co_u32_e32 v0, vcc, v24, v0
	v_addc_co_u32_e32 v1, vcc, v25, v1, vcc
	v_mov_b32_e32 v5, v2
	global_store_dwordx4 v[0:1], v[16:19], off
	v_lshlrev_b64 v[0:1], 4, v[4:5]
	v_add_co_u32_e32 v0, vcc, v24, v0
	v_addc_co_u32_e32 v1, vcc, v25, v1, vcc
	global_store_dwordx4 v[0:1], v[20:23], off
.LBB0_20:
	s_endpgm
	.section	.rodata,"a",@progbits
	.p2align	6, 0x0
	.amdhsa_kernel fft_rtc_back_len1512_factors_2_2_2_3_3_3_7_wgs_63_tpt_63_halfLds_dp_ip_CI_sbrr_dirReg
		.amdhsa_group_segment_fixed_size 0
		.amdhsa_private_segment_fixed_size 0
		.amdhsa_kernarg_size 88
		.amdhsa_user_sgpr_count 6
		.amdhsa_user_sgpr_private_segment_buffer 1
		.amdhsa_user_sgpr_dispatch_ptr 0
		.amdhsa_user_sgpr_queue_ptr 0
		.amdhsa_user_sgpr_kernarg_segment_ptr 1
		.amdhsa_user_sgpr_dispatch_id 0
		.amdhsa_user_sgpr_flat_scratch_init 0
		.amdhsa_user_sgpr_private_segment_size 0
		.amdhsa_uses_dynamic_stack 0
		.amdhsa_system_sgpr_private_segment_wavefront_offset 0
		.amdhsa_system_sgpr_workgroup_id_x 1
		.amdhsa_system_sgpr_workgroup_id_y 0
		.amdhsa_system_sgpr_workgroup_id_z 0
		.amdhsa_system_sgpr_workgroup_info 0
		.amdhsa_system_vgpr_workitem_id 0
		.amdhsa_next_free_vgpr 185
		.amdhsa_next_free_sgpr 30
		.amdhsa_reserve_vcc 1
		.amdhsa_reserve_flat_scratch 0
		.amdhsa_float_round_mode_32 0
		.amdhsa_float_round_mode_16_64 0
		.amdhsa_float_denorm_mode_32 3
		.amdhsa_float_denorm_mode_16_64 3
		.amdhsa_dx10_clamp 1
		.amdhsa_ieee_mode 1
		.amdhsa_fp16_overflow 0
		.amdhsa_exception_fp_ieee_invalid_op 0
		.amdhsa_exception_fp_denorm_src 0
		.amdhsa_exception_fp_ieee_div_zero 0
		.amdhsa_exception_fp_ieee_overflow 0
		.amdhsa_exception_fp_ieee_underflow 0
		.amdhsa_exception_fp_ieee_inexact 0
		.amdhsa_exception_int_div_zero 0
	.end_amdhsa_kernel
	.text
.Lfunc_end0:
	.size	fft_rtc_back_len1512_factors_2_2_2_3_3_3_7_wgs_63_tpt_63_halfLds_dp_ip_CI_sbrr_dirReg, .Lfunc_end0-fft_rtc_back_len1512_factors_2_2_2_3_3_3_7_wgs_63_tpt_63_halfLds_dp_ip_CI_sbrr_dirReg
                                        ; -- End function
	.section	.AMDGPU.csdata,"",@progbits
; Kernel info:
; codeLenInByte = 20340
; NumSgprs: 34
; NumVgprs: 185
; ScratchSize: 0
; MemoryBound: 1
; FloatMode: 240
; IeeeMode: 1
; LDSByteSize: 0 bytes/workgroup (compile time only)
; SGPRBlocks: 4
; VGPRBlocks: 46
; NumSGPRsForWavesPerEU: 34
; NumVGPRsForWavesPerEU: 185
; Occupancy: 1
; WaveLimiterHint : 1
; COMPUTE_PGM_RSRC2:SCRATCH_EN: 0
; COMPUTE_PGM_RSRC2:USER_SGPR: 6
; COMPUTE_PGM_RSRC2:TRAP_HANDLER: 0
; COMPUTE_PGM_RSRC2:TGID_X_EN: 1
; COMPUTE_PGM_RSRC2:TGID_Y_EN: 0
; COMPUTE_PGM_RSRC2:TGID_Z_EN: 0
; COMPUTE_PGM_RSRC2:TIDIG_COMP_CNT: 0
	.type	__hip_cuid_691b083bf387a50a,@object ; @__hip_cuid_691b083bf387a50a
	.section	.bss,"aw",@nobits
	.globl	__hip_cuid_691b083bf387a50a
__hip_cuid_691b083bf387a50a:
	.byte	0                               ; 0x0
	.size	__hip_cuid_691b083bf387a50a, 1

	.ident	"AMD clang version 19.0.0git (https://github.com/RadeonOpenCompute/llvm-project roc-6.4.0 25133 c7fe45cf4b819c5991fe208aaa96edf142730f1d)"
	.section	".note.GNU-stack","",@progbits
	.addrsig
	.addrsig_sym __hip_cuid_691b083bf387a50a
	.amdgpu_metadata
---
amdhsa.kernels:
  - .args:
      - .actual_access:  read_only
        .address_space:  global
        .offset:         0
        .size:           8
        .value_kind:     global_buffer
      - .offset:         8
        .size:           8
        .value_kind:     by_value
      - .actual_access:  read_only
        .address_space:  global
        .offset:         16
        .size:           8
        .value_kind:     global_buffer
      - .actual_access:  read_only
        .address_space:  global
        .offset:         24
        .size:           8
        .value_kind:     global_buffer
      - .offset:         32
        .size:           8
        .value_kind:     by_value
      - .actual_access:  read_only
        .address_space:  global
        .offset:         40
        .size:           8
        .value_kind:     global_buffer
      - .actual_access:  read_only
        .address_space:  global
        .offset:         48
        .size:           8
        .value_kind:     global_buffer
      - .offset:         56
        .size:           4
        .value_kind:     by_value
      - .actual_access:  read_only
        .address_space:  global
        .offset:         64
        .size:           8
        .value_kind:     global_buffer
      - .actual_access:  read_only
        .address_space:  global
        .offset:         72
        .size:           8
        .value_kind:     global_buffer
      - .address_space:  global
        .offset:         80
        .size:           8
        .value_kind:     global_buffer
    .group_segment_fixed_size: 0
    .kernarg_segment_align: 8
    .kernarg_segment_size: 88
    .language:       OpenCL C
    .language_version:
      - 2
      - 0
    .max_flat_workgroup_size: 63
    .name:           fft_rtc_back_len1512_factors_2_2_2_3_3_3_7_wgs_63_tpt_63_halfLds_dp_ip_CI_sbrr_dirReg
    .private_segment_fixed_size: 0
    .sgpr_count:     34
    .sgpr_spill_count: 0
    .symbol:         fft_rtc_back_len1512_factors_2_2_2_3_3_3_7_wgs_63_tpt_63_halfLds_dp_ip_CI_sbrr_dirReg.kd
    .uniform_work_group_size: 1
    .uses_dynamic_stack: false
    .vgpr_count:     185
    .vgpr_spill_count: 0
    .wavefront_size: 64
amdhsa.target:   amdgcn-amd-amdhsa--gfx906
amdhsa.version:
  - 1
  - 2
...

	.end_amdgpu_metadata
